;; amdgpu-corpus repo=ROCm/rocFFT kind=compiled arch=gfx950 opt=O3
	.text
	.amdgcn_target "amdgcn-amd-amdhsa--gfx950"
	.amdhsa_code_object_version 6
	.protected	bluestein_single_fwd_len72_dim1_half_op_CI_CI ; -- Begin function bluestein_single_fwd_len72_dim1_half_op_CI_CI
	.globl	bluestein_single_fwd_len72_dim1_half_op_CI_CI
	.p2align	8
	.type	bluestein_single_fwd_len72_dim1_half_op_CI_CI,@function
bluestein_single_fwd_len72_dim1_half_op_CI_CI: ; @bluestein_single_fwd_len72_dim1_half_op_CI_CI
; %bb.0:
	s_load_dwordx4 s[16:19], s[0:1], 0x28
	v_mul_u32_u24_e32 v1, 0x1c72, v0
	v_lshrrev_b32_e32 v4, 16, v1
	v_mad_u64_u32 v[2:3], s[2:3], s2, 7, v[4:5]
	v_mov_b32_e32 v15, 0
	v_mov_b32_e32 v3, v15
	s_waitcnt lgkmcnt(0)
	v_cmp_gt_u64_e32 vcc, s[16:17], v[2:3]
	s_and_saveexec_b64 s[2:3], vcc
	s_cbranch_execz .LBB0_18
; %bb.1:
	s_load_dwordx4 s[4:7], s[0:1], 0x18
	s_load_dwordx4 s[8:11], s[0:1], 0x0
	v_mul_lo_u16_e32 v1, 9, v4
	v_sub_u16_e32 v0, v0, v1
	v_mov_b32_e32 v6, s18
	s_waitcnt lgkmcnt(0)
	s_load_dwordx4 s[12:15], s[4:5], 0x0
	v_mov_b32_e32 v7, s19
	v_lshlrev_b32_e32 v14, 2, v0
	global_load_dword v37, v14, s[8:9]
	s_load_dwordx2 s[0:1], s[0:1], 0x38
	s_waitcnt lgkmcnt(0)
	v_mad_u64_u32 v[4:5], s[2:3], s14, v2, 0
	v_mov_b32_e32 v8, v5
	v_mad_u64_u32 v[8:9], s[2:3], s15, v2, v[8:9]
	v_mov_b32_e32 v5, v8
	;; [unrolled: 2-line block ×4, first 2 shown]
	v_lshl_add_u64 v[4:5], v[4:5], 2, v[6:7]
	v_lshl_add_u64 v[4:5], v[8:9], 2, v[4:5]
	global_load_dword v1, v[4:5], off
	v_mad_u64_u32 v[4:5], s[2:3], s12, 36, v[4:5]
	s_mul_i32 s4, s13, 36
	v_add_u32_e32 v5, s4, v5
	global_load_dword v6, v[4:5], off
	global_load_dword v36, v14, s[8:9] offset:36
	v_mad_u64_u32 v[4:5], s[2:3], s12, 36, v[4:5]
	v_add_u32_e32 v5, s4, v5
	global_load_dword v7, v[4:5], off
	global_load_dword v35, v14, s[8:9] offset:72
	v_mad_u64_u32 v[4:5], s[2:3], s12, 36, v[4:5]
	;; [unrolled: 4-line block ×6, first 2 shown]
	v_add_u32_e32 v5, s4, v5
	global_load_dword v12, v[4:5], off
	global_load_dword v3, v14, s[8:9] offset:252
	s_mov_b32 s2, 0x24924925
	v_mul_hi_u32 v4, v2, s2
	v_sub_u32_e32 v5, v2, v4
	v_lshrrev_b32_e32 v5, 1, v5
	v_add_u32_e32 v4, v5, v4
	v_lshrrev_b32_e32 v4, 2, v4
	v_mul_lo_u32 v4, v4, 7
	v_sub_u32_e32 v4, v2, v4
	v_mul_u32_u24_e32 v4, 0x48, v4
	v_lshlrev_b32_e32 v38, 2, v4
	v_add_u32_e32 v33, v14, v38
	s_load_dwordx4 s[4:7], s[6:7], 0x0
	s_mov_b32 s2, 0xb9a8
	s_movk_i32 s3, 0x39a8
	v_lshl_add_u32 v39, v0, 5, v38
	v_cmp_gt_u16_e32 vcc, 6, v0
                                        ; implicit-def: $vgpr27
                                        ; implicit-def: $vgpr28
	s_waitcnt vmcnt(14)
	v_lshrrev_b32_e32 v4, 16, v1
	v_mul_f16_sdwa v5, v37, v1 dst_sel:DWORD dst_unused:UNUSED_PAD src0_sel:WORD_1 src1_sel:DWORD
	v_mul_f16_sdwa v13, v37, v4 dst_sel:DWORD dst_unused:UNUSED_PAD src0_sel:WORD_1 src1_sel:DWORD
	v_fma_f16 v4, v37, v4, -v5
	v_fma_f16 v1, v37, v1, v13
	s_waitcnt vmcnt(13)
	v_lshrrev_b32_e32 v5, 16, v6
	s_waitcnt vmcnt(12)
	v_mul_f16_sdwa v13, v36, v6 dst_sel:DWORD dst_unused:UNUSED_PAD src0_sel:WORD_1 src1_sel:DWORD
	v_pack_b32_f16 v1, v1, v4
	v_mul_f16_sdwa v4, v36, v5 dst_sel:DWORD dst_unused:UNUSED_PAD src0_sel:WORD_1 src1_sel:DWORD
	v_fma_f16 v5, v36, v5, -v13
	v_fma_f16 v4, v36, v6, v4
	s_waitcnt vmcnt(11)
	v_lshrrev_b32_e32 v6, 16, v7
	s_waitcnt vmcnt(10)
	v_mul_f16_sdwa v13, v35, v7 dst_sel:DWORD dst_unused:UNUSED_PAD src0_sel:WORD_1 src1_sel:DWORD
	v_pack_b32_f16 v4, v4, v5
	v_mul_f16_sdwa v5, v35, v6 dst_sel:DWORD dst_unused:UNUSED_PAD src0_sel:WORD_1 src1_sel:DWORD
	v_fma_f16 v6, v35, v6, -v13
	ds_write2_b32 v33, v1, v4 offset1:9
	v_fma_f16 v1, v35, v7, v5
	s_waitcnt vmcnt(9)
	v_lshrrev_b32_e32 v4, 16, v8
	s_waitcnt vmcnt(8)
	v_mul_f16_sdwa v5, v34, v8 dst_sel:DWORD dst_unused:UNUSED_PAD src0_sel:WORD_1 src1_sel:DWORD
	v_pack_b32_f16 v1, v1, v6
	v_mul_f16_sdwa v6, v34, v4 dst_sel:DWORD dst_unused:UNUSED_PAD src0_sel:WORD_1 src1_sel:DWORD
	v_fma_f16 v4, v34, v4, -v5
	v_fma_f16 v5, v34, v8, v6
	s_waitcnt vmcnt(7)
	v_lshrrev_b32_e32 v6, 16, v9
	s_waitcnt vmcnt(6)
	v_mul_f16_sdwa v7, v32, v9 dst_sel:DWORD dst_unused:UNUSED_PAD src0_sel:WORD_1 src1_sel:DWORD
	v_pack_b32_f16 v4, v5, v4
	v_mul_f16_sdwa v5, v32, v6 dst_sel:DWORD dst_unused:UNUSED_PAD src0_sel:WORD_1 src1_sel:DWORD
	v_fma_f16 v6, v32, v6, -v7
	ds_write2_b32 v33, v1, v4 offset0:18 offset1:27
	v_fma_f16 v1, v32, v9, v5
	s_waitcnt vmcnt(5)
	v_lshrrev_b32_e32 v4, 16, v10
	s_waitcnt vmcnt(4)
	v_mul_f16_sdwa v5, v31, v10 dst_sel:DWORD dst_unused:UNUSED_PAD src0_sel:WORD_1 src1_sel:DWORD
	v_pack_b32_f16 v1, v1, v6
	v_mul_f16_sdwa v6, v31, v4 dst_sel:DWORD dst_unused:UNUSED_PAD src0_sel:WORD_1 src1_sel:DWORD
	v_fma_f16 v4, v31, v4, -v5
	v_fma_f16 v5, v31, v10, v6
	v_pack_b32_f16 v4, v5, v4
	ds_write2_b32 v33, v1, v4 offset0:36 offset1:45
	s_waitcnt vmcnt(3)
	v_lshrrev_b32_e32 v1, 16, v11
	s_waitcnt vmcnt(2)
	v_mul_f16_sdwa v4, v30, v1 dst_sel:DWORD dst_unused:UNUSED_PAD src0_sel:WORD_1 src1_sel:DWORD
	v_mul_f16_sdwa v5, v30, v11 dst_sel:DWORD dst_unused:UNUSED_PAD src0_sel:WORD_1 src1_sel:DWORD
	v_fma_f16 v4, v30, v11, v4
	v_fma_f16 v1, v30, v1, -v5
	v_pack_b32_f16 v1, v4, v1
	s_waitcnt vmcnt(1)
	v_lshrrev_b32_e32 v4, 16, v12
	s_waitcnt vmcnt(0)
	v_mul_f16_sdwa v5, v3, v4 dst_sel:DWORD dst_unused:UNUSED_PAD src0_sel:WORD_1 src1_sel:DWORD
	v_mul_f16_sdwa v6, v3, v12 dst_sel:DWORD dst_unused:UNUSED_PAD src0_sel:WORD_1 src1_sel:DWORD
	v_fma_f16 v5, v3, v12, v5
	v_fma_f16 v4, v3, v4, -v6
	v_pack_b32_f16 v4, v5, v4
	ds_write2_b32 v33, v1, v4 offset0:54 offset1:63
	s_waitcnt lgkmcnt(0)
	; wave barrier
	s_waitcnt lgkmcnt(0)
	ds_read2_b32 v[4:5], v33 offset1:9
	ds_read2_b32 v[6:7], v33 offset0:36 offset1:45
	ds_read2_b32 v[8:9], v33 offset0:18 offset1:27
	;; [unrolled: 1-line block ×3, first 2 shown]
	s_waitcnt lgkmcnt(0)
	; wave barrier
	s_waitcnt lgkmcnt(0)
	v_pk_add_f16 v1, v4, v6 neg_lo:[0,1] neg_hi:[0,1]
	v_pk_add_f16 v7, v5, v7 neg_lo:[0,1] neg_hi:[0,1]
	;; [unrolled: 1-line block ×3, first 2 shown]
	v_pk_fma_f16 v4, v4, 2.0, v1 op_sel_hi:[1,0,1] neg_lo:[0,0,1] neg_hi:[0,0,1]
	v_pk_fma_f16 v8, v8, 2.0, v6 op_sel_hi:[1,0,1] neg_lo:[0,0,1] neg_hi:[0,0,1]
	v_pk_add_f16 v10, v9, v11 neg_lo:[0,1] neg_hi:[0,1]
	v_pk_add_f16 v8, v4, v8 neg_lo:[0,1] neg_hi:[0,1]
	v_pk_fma_f16 v5, v5, 2.0, v7 op_sel_hi:[1,0,1] neg_lo:[0,0,1] neg_hi:[0,0,1]
	v_pk_fma_f16 v9, v9, 2.0, v10 op_sel_hi:[1,0,1] neg_lo:[0,0,1] neg_hi:[0,0,1]
	;; [unrolled: 1-line block ×3, first 2 shown]
	v_lshrrev_b32_e32 v4, 16, v1
	v_sub_f16_sdwa v12, v1, v6 dst_sel:DWORD dst_unused:UNUSED_PAD src0_sel:DWORD src1_sel:WORD_1
	v_add_f16_e32 v13, v4, v6
	v_pk_add_f16 v9, v5, v9 neg_lo:[0,1] neg_hi:[0,1]
	v_lshrrev_b32_e32 v6, 16, v7
	v_fma_f16 v16, v4, 2.0, -v13
	v_pk_fma_f16 v4, v5, 2.0, v9 op_sel_hi:[1,0,1] neg_lo:[0,0,1] neg_hi:[0,0,1]
	v_sub_f16_sdwa v5, v7, v10 dst_sel:DWORD dst_unused:UNUSED_PAD src0_sel:DWORD src1_sel:WORD_1
	v_add_f16_e32 v10, v6, v10
	v_fma_f16 v1, v1, 2.0, -v12
	v_fma_f16 v7, v7, 2.0, -v5
	;; [unrolled: 1-line block ×3, first 2 shown]
	v_pk_add_f16 v4, v11, v4 neg_lo:[0,1] neg_hi:[0,1]
	v_fma_f16 v18, v17, s2, v16
	v_pk_fma_f16 v6, v11, 2.0, v4 op_sel_hi:[1,0,1] neg_lo:[0,0,1] neg_hi:[0,0,1]
	v_fma_f16 v11, v7, s2, v1
	v_fma_f16 v11, v17, s2, v11
	;; [unrolled: 1-line block ×3, first 2 shown]
	v_lshrrev_b32_e32 v17, 16, v8
	v_fma_f16 v7, v16, 2.0, -v18
	v_sub_f16_sdwa v16, v8, v9 dst_sel:DWORD dst_unused:UNUSED_PAD src0_sel:DWORD src1_sel:WORD_1
	v_add_f16_e32 v19, v17, v9
	v_fma_f16 v9, v5, s3, v12
	v_fma_f16 v21, v10, s3, v13
	v_fma_f16 v20, v17, 2.0, -v19
	v_fma_f16 v17, v10, s2, v9
	v_fma_f16 v26, v5, s3, v21
	v_fma_f16 v1, v1, 2.0, -v11
	v_fma_f16 v8, v8, 2.0, -v16
	;; [unrolled: 1-line block ×4, first 2 shown]
	v_pack_b32_f16 v9, v5, v9
	v_pack_b32_f16 v8, v8, v20
	;; [unrolled: 1-line block ×3, first 2 shown]
	ds_write_b128 v39, v[6:9]
	v_pack_b32_f16 v7, v17, v26
	v_pack_b32_f16 v6, v16, v19
	;; [unrolled: 1-line block ×3, first 2 shown]
	ds_write_b128 v39, v[4:7] offset:16
	s_waitcnt lgkmcnt(0)
	; wave barrier
	s_waitcnt lgkmcnt(0)
	ds_read2_b32 v[20:21], v33 offset1:9
	ds_read2_b32 v[22:23], v33 offset0:24 offset1:33
	ds_read2_b32 v[24:25], v33 offset0:48 offset1:57
	v_mov_b32_e32 v1, v15
	s_and_saveexec_b64 s[2:3], vcc
	s_cbranch_execz .LBB0_3
; %bb.2:
	ds_read2_b32 v[16:17], v33 offset0:18 offset1:42
	ds_read_b32 v27, v33 offset:264
	s_waitcnt lgkmcnt(1)
	v_lshrrev_b32_e32 v19, 16, v16
	v_lshrrev_b32_e32 v26, 16, v17
	s_waitcnt lgkmcnt(0)
	v_lshrrev_b32_e32 v28, 16, v27
.LBB0_3:
	s_or_b64 exec, exec, s[2:3]
	v_and_b32_e32 v29, 7, v0
	v_lshl_add_u64 v[12:13], v[0:1], 0, 9
	v_lshlrev_b32_e32 v4, 3, v29
	v_and_b32_e32 v13, 7, v12
	global_load_dwordx2 v[6:7], v4, s[10:11]
	v_lshlrev_b32_e32 v4, 3, v13
	global_load_dwordx2 v[8:9], v4, s[10:11]
	v_lshl_add_u64 v[4:5], v[0:1], 0, 18
	v_and_b32_e32 v40, 7, v4
	v_lshlrev_b32_e32 v10, 3, v40
	global_load_dwordx2 v[10:11], v10, s[10:11]
	s_waitcnt lgkmcnt(1)
	v_lshrrev_b32_e32 v42, 16, v22
	s_waitcnt lgkmcnt(0)
	v_lshrrev_b32_e32 v43, 16, v24
	v_lshrrev_b32_e32 v45, 16, v23
	;; [unrolled: 1-line block ×5, first 2 shown]
	s_movk_i32 s2, 0x3aee
	s_mov_b32 s3, 0xbaee
	s_waitcnt lgkmcnt(0)
	; wave barrier
	v_lshlrev_b32_e32 v18, 3, v0
	v_lshl_add_u32 v40, v40, 2, v38
	s_waitcnt vmcnt(2)
	v_mul_f16_sdwa v47, v42, v6 dst_sel:DWORD dst_unused:UNUSED_PAD src0_sel:DWORD src1_sel:WORD_1
	v_mul_f16_sdwa v48, v22, v6 dst_sel:DWORD dst_unused:UNUSED_PAD src0_sel:DWORD src1_sel:WORD_1
	v_mul_f16_sdwa v49, v43, v7 dst_sel:DWORD dst_unused:UNUSED_PAD src0_sel:DWORD src1_sel:WORD_1
	v_mul_f16_sdwa v50, v24, v7 dst_sel:DWORD dst_unused:UNUSED_PAD src0_sel:DWORD src1_sel:WORD_1
	v_fma_f16 v22, v22, v6, -v47
	v_fma_f16 v42, v42, v6, v48
	v_fma_f16 v24, v24, v7, -v49
	v_fma_f16 v43, v43, v7, v50
	s_waitcnt vmcnt(1)
	v_mul_f16_sdwa v47, v45, v8 dst_sel:DWORD dst_unused:UNUSED_PAD src0_sel:DWORD src1_sel:WORD_1
	v_mul_f16_sdwa v49, v46, v9 dst_sel:DWORD dst_unused:UNUSED_PAD src0_sel:DWORD src1_sel:WORD_1
	;; [unrolled: 1-line block ×3, first 2 shown]
	s_waitcnt vmcnt(0)
	v_mul_f16_sdwa v51, v26, v10 dst_sel:DWORD dst_unused:UNUSED_PAD src0_sel:DWORD src1_sel:WORD_1
	v_mul_f16_sdwa v53, v28, v11 dst_sel:DWORD dst_unused:UNUSED_PAD src0_sel:DWORD src1_sel:WORD_1
	;; [unrolled: 1-line block ×5, first 2 shown]
	v_fma_f16 v23, v23, v8, -v47
	v_fma_f16 v25, v25, v9, -v49
	v_fma_f16 v46, v46, v9, v50
	v_fma_f16 v17, v17, v10, -v51
	v_fma_f16 v27, v27, v11, -v53
	v_add_f16_e32 v47, v20, v22
	v_add_f16_e32 v50, v41, v42
	v_fma_f16 v45, v45, v8, v48
	v_fma_f16 v26, v26, v10, v52
	;; [unrolled: 1-line block ×3, first 2 shown]
	v_add_f16_e32 v48, v22, v24
	v_sub_f16_e32 v49, v42, v43
	v_add_f16_e32 v42, v42, v43
	v_sub_f16_e32 v22, v22, v24
	v_add_f16_e32 v24, v47, v24
	v_add_f16_e32 v47, v50, v43
	;; [unrolled: 1-line block ×4, first 2 shown]
	v_fma_f16 v20, v48, -0.5, v20
	v_fma_f16 v41, v42, -0.5, v41
	v_add_f16_e32 v42, v21, v23
	v_sub_f16_e32 v48, v45, v46
	v_add_f16_e32 v50, v44, v45
	v_add_f16_e32 v45, v45, v46
	;; [unrolled: 1-line block ×3, first 2 shown]
	v_sub_f16_e32 v53, v26, v28
	v_add_f16_e32 v54, v19, v26
	v_add_f16_e32 v26, v26, v28
	v_fma_f16 v21, v43, -0.5, v21
	v_fma_f16 v16, v52, -0.5, v16
	v_sub_f16_e32 v17, v17, v27
	v_fma_f16 v55, v49, s2, v20
	v_fma_f16 v49, v49, s3, v20
	;; [unrolled: 1-line block ×4, first 2 shown]
	v_fma_f16 v41, v45, -0.5, v44
	v_add_f16_e32 v20, v51, v27
	v_fma_f16 v19, v26, -0.5, v19
	v_fma_f16 v26, v48, s2, v21
	v_fma_f16 v27, v48, s3, v21
	;; [unrolled: 1-line block ×4, first 2 shown]
	v_lshrrev_b32_e32 v16, 3, v0
	v_mul_u32_u24_e32 v16, 24, v16
	v_sub_f16_e32 v23, v23, v25
	v_or_b32_e32 v16, v16, v29
	v_add_f16_e32 v50, v50, v46
	v_add_f16_e32 v43, v54, v28
	v_fma_f16 v28, v23, s3, v41
	v_fma_f16 v23, v23, s2, v41
	;; [unrolled: 1-line block ×4, first 2 shown]
	v_lshl_add_u32 v41, v16, 2, v38
	v_pack_b32_f16 v16, v24, v47
	v_pack_b32_f16 v17, v55, v56
	ds_write2_b32 v41, v16, v17 offset1:8
	v_pack_b32_f16 v16, v49, v22
	ds_write_b32 v41, v16 offset:64
	v_lshrrev_b32_e32 v16, 3, v12
	v_mul_u32_u24_e32 v16, 24, v16
	v_add_f16_e32 v25, v42, v25
	v_or_b32_e32 v13, v16, v13
	v_lshl_add_u32 v42, v13, 2, v38
	v_pack_b32_f16 v13, v25, v50
	v_pack_b32_f16 v16, v26, v28
	ds_write2_b32 v42, v13, v16 offset1:8
	v_pack_b32_f16 v13, v27, v23
	ds_write_b32 v42, v13 offset:64
	s_and_saveexec_b64 s[2:3], vcc
	s_cbranch_execz .LBB0_5
; %bb.4:
	v_mov_b32_e32 v16, 0xe0
	s_mov_b32 s12, 0x5040100
	v_lshl_or_b32 v16, v4, 2, v16
	v_add_u32_e32 v16, v38, v16
	v_perm_b32 v17, v45, v21, s12
	v_perm_b32 v13, v43, v20, s12
	ds_write_b32 v16, v17
	v_perm_b32 v16, v46, v44, s12
	ds_write2_b32 v40, v13, v16 offset0:48 offset1:64
.LBB0_5:
	s_or_b64 exec, exec, s[2:3]
	s_waitcnt lgkmcnt(0)
	; wave barrier
	s_waitcnt lgkmcnt(0)
	ds_read2_b32 v[22:23], v33 offset1:9
	ds_read2_b32 v[26:27], v33 offset0:24 offset1:33
	ds_read2_b32 v[28:29], v33 offset0:48 offset1:57
	v_mov_b32_e32 v19, v15
	s_and_saveexec_b64 s[2:3], vcc
	s_cbranch_execz .LBB0_7
; %bb.6:
	ds_read2_b32 v[20:21], v33 offset0:18 offset1:42
	ds_read_b32 v44, v33 offset:264
	s_waitcnt lgkmcnt(1)
	v_lshrrev_b32_e32 v43, 16, v20
	v_lshrrev_b32_e32 v45, 16, v21
	s_waitcnt lgkmcnt(0)
	v_lshrrev_b32_e32 v46, 16, v44
.LBB0_7:
	s_or_b64 exec, exec, s[2:3]
	v_lshl_add_u64 v[16:17], s[10:11], 0, v[18:19]
	v_lshlrev_b32_e32 v12, 3, v12
	global_load_dwordx2 v[16:17], v[16:17], off offset:64
	v_lshl_add_u64 v[24:25], s[8:9], 0, v[14:15]
	global_load_dwordx2 v[18:19], v12, s[10:11] offset:64
	v_lshl_add_u64 v[12:13], v[0:1], 0, -6
	v_cndmask_b32_e32 v13, v13, v5, vcc
	v_cndmask_b32_e32 v12, v12, v4, vcc
	v_lshl_add_u64 v[12:13], v[12:13], 3, s[10:11]
	global_load_dwordx2 v[12:13], v[12:13], off offset:64
	s_waitcnt lgkmcnt(1)
	v_lshrrev_b32_e32 v14, 16, v26
	s_waitcnt lgkmcnt(0)
	v_lshrrev_b32_e32 v15, 16, v28
	v_lshrrev_b32_e32 v48, 16, v27
	;; [unrolled: 1-line block ×5, first 2 shown]
	s_movk_i32 s2, 0x3aee
	s_mov_b32 s3, 0xbaee
	v_lshl_add_u32 v1, v0, 2, v38
	s_waitcnt vmcnt(2)
	v_mul_f16_sdwa v50, v14, v16 dst_sel:DWORD dst_unused:UNUSED_PAD src0_sel:DWORD src1_sel:WORD_1
	v_mul_f16_sdwa v51, v26, v16 dst_sel:DWORD dst_unused:UNUSED_PAD src0_sel:DWORD src1_sel:WORD_1
	;; [unrolled: 1-line block ×4, first 2 shown]
	s_waitcnt vmcnt(1)
	v_mul_f16_sdwa v54, v48, v18 dst_sel:DWORD dst_unused:UNUSED_PAD src0_sel:DWORD src1_sel:WORD_1
	v_mul_f16_sdwa v55, v27, v18 dst_sel:DWORD dst_unused:UNUSED_PAD src0_sel:DWORD src1_sel:WORD_1
	;; [unrolled: 1-line block ×4, first 2 shown]
	v_fma_f16 v26, v26, v16, -v50
	v_fma_f16 v14, v14, v16, v51
	v_fma_f16 v28, v28, v17, -v52
	v_fma_f16 v15, v15, v17, v53
	;; [unrolled: 2-line block ×3, first 2 shown]
	v_fma_f16 v29, v29, v19, -v56
	s_waitcnt vmcnt(0)
	v_mul_f16_sdwa v50, v45, v12 dst_sel:DWORD dst_unused:UNUSED_PAD src0_sel:DWORD src1_sel:WORD_1
	v_mul_f16_sdwa v51, v21, v12 dst_sel:DWORD dst_unused:UNUSED_PAD src0_sel:DWORD src1_sel:WORD_1
	v_mul_f16_sdwa v52, v46, v13 dst_sel:DWORD dst_unused:UNUSED_PAD src0_sel:DWORD src1_sel:WORD_1
	v_mul_f16_sdwa v53, v44, v13 dst_sel:DWORD dst_unused:UNUSED_PAD src0_sel:DWORD src1_sel:WORD_1
	v_fma_f16 v49, v49, v19, v57
	v_add_f16_e32 v54, v22, v26
	v_add_f16_e32 v55, v26, v28
	v_sub_f16_e32 v56, v14, v15
	v_add_f16_e32 v57, v5, v14
	v_add_f16_e32 v58, v14, v15
	v_sub_f16_e32 v59, v26, v28
	v_add_f16_e32 v60, v23, v27
	v_add_f16_e32 v61, v27, v29
	;; [unrolled: 1-line block ×3, first 2 shown]
	v_sub_f16_e32 v64, v27, v29
	v_fma_f16 v14, v21, v12, -v50
	v_fma_f16 v26, v45, v12, v51
	v_fma_f16 v21, v44, v13, -v52
	v_fma_f16 v27, v46, v13, v53
	v_sub_f16_e32 v62, v48, v49
	v_add_f16_e32 v48, v48, v49
	v_add_f16_e32 v28, v54, v28
	v_fma_f16 v22, v55, -0.5, v22
	v_add_f16_e32 v15, v57, v15
	v_fma_f16 v5, v58, -0.5, v5
	;; [unrolled: 2-line block ×3, first 2 shown]
	v_add_f16_e32 v44, v63, v49
	v_add_f16_e32 v52, v14, v21
	;; [unrolled: 1-line block ×3, first 2 shown]
	v_fma_f16 v45, v48, -0.5, v47
	v_fma_f16 v46, v56, s2, v22
	v_fma_f16 v47, v56, s3, v22
	v_fma_f16 v48, v59, s3, v5
	v_fma_f16 v5, v59, s2, v5
	v_fma_f16 v49, v62, s2, v23
	v_fma_f16 v50, v62, s3, v23
	v_sub_f16_e32 v22, v26, v27
	v_sub_f16_e32 v23, v14, v21
	v_pack_b32_f16 v54, v28, v15
	v_pack_b32_f16 v44, v29, v44
	v_fma_f16 v28, v52, -0.5, v20
	v_fma_f16 v29, v53, -0.5, v43
	v_fma_f16 v51, v64, s3, v45
	v_fma_f16 v45, v64, s2, v45
	v_pack_b32_f16 v46, v46, v48
	v_pack_b32_f16 v47, v47, v5
	v_fma_f16 v15, v22, s3, v28
	v_fma_f16 v5, v23, s2, v29
	v_pack_b32_f16 v48, v49, v51
	v_pack_b32_f16 v45, v50, v45
	ds_write2_b32 v1, v46, v47 offset0:24 offset1:48
	ds_write2_b32 v33, v54, v44 offset1:9
	ds_write2_b32 v33, v48, v45 offset0:33 offset1:57
	s_and_saveexec_b64 s[2:3], vcc
	s_cbranch_execz .LBB0_9
; %bb.8:
	v_add_f16_e32 v26, v43, v26
	v_add_f16_e32 v14, v20, v14
	v_mul_f16_e32 v22, 0x3aee, v22
	v_mul_f16_e32 v23, 0x3aee, v23
	v_add_f16_e32 v26, v26, v27
	v_add_f16_e32 v14, v14, v21
	v_sub_f16_e32 v23, v29, v23
	v_add_f16_e32 v22, v22, v28
	v_pack_b32_f16 v14, v14, v26
	s_mov_b32 s10, 0x5040100
	ds_write_b32 v33, v14 offset:72
	v_pack_b32_f16 v14, v22, v23
	v_perm_b32 v20, v5, v15, s10
	ds_write2_b32 v1, v14, v20 offset0:42 offset1:66
.LBB0_9:
	s_or_b64 exec, exec, s[2:3]
	s_waitcnt lgkmcnt(0)
	; wave barrier
	s_waitcnt lgkmcnt(0)
	global_load_dword v14, v[24:25], off offset:288
	s_add_u32 s2, s8, 0x120
	s_addc_u32 s3, s9, 0
	v_lshlrev_b32_e32 v20, 2, v0
	global_load_dword v26, v20, s[2:3] offset:36
	global_load_dword v27, v20, s[2:3] offset:72
	;; [unrolled: 1-line block ×7, first 2 shown]
	ds_read2_b32 v[20:21], v33 offset1:9
	ds_read2_b32 v[22:23], v33 offset0:27 offset1:36
	ds_read_b32 v46, v1 offset:72
	ds_read2_b32 v[24:25], v33 offset0:45 offset1:54
	ds_read_b32 v47, v33 offset:252
	s_waitcnt lgkmcnt(4)
	v_lshrrev_b32_e32 v48, 16, v20
	v_lshrrev_b32_e32 v49, 16, v21
	s_waitcnt lgkmcnt(2)
	v_lshrrev_b32_e32 v50, 16, v46
	v_lshrrev_b32_e32 v51, 16, v22
	;; [unrolled: 1-line block ×3, first 2 shown]
	s_waitcnt lgkmcnt(1)
	v_lshrrev_b32_e32 v53, 16, v24
	v_lshrrev_b32_e32 v54, 16, v25
	s_waitcnt lgkmcnt(0)
	v_lshrrev_b32_e32 v55, 16, v47
	s_mov_b32 s2, 0xb9a8
	s_movk_i32 s3, 0x39a8
	s_waitcnt vmcnt(4)
	v_mul_f16_sdwa v58, v51, v28 dst_sel:DWORD dst_unused:UNUSED_PAD src0_sel:DWORD src1_sel:WORD_1
	v_mul_f16_sdwa v56, v48, v14 dst_sel:DWORD dst_unused:UNUSED_PAD src0_sel:DWORD src1_sel:WORD_1
	;; [unrolled: 1-line block ×3, first 2 shown]
	v_fma_f16 v20, v20, v14, -v56
	v_fma_f16 v14, v48, v14, v57
	v_pack_b32_f16 v14, v20, v14
	v_mul_f16_sdwa v20, v49, v26 dst_sel:DWORD dst_unused:UNUSED_PAD src0_sel:DWORD src1_sel:WORD_1
	v_mul_f16_sdwa v48, v21, v26 dst_sel:DWORD dst_unused:UNUSED_PAD src0_sel:DWORD src1_sel:WORD_1
	;; [unrolled: 1-line block ×5, first 2 shown]
	s_waitcnt vmcnt(3)
	v_mul_f16_sdwa v60, v52, v29 dst_sel:DWORD dst_unused:UNUSED_PAD src0_sel:DWORD src1_sel:WORD_1
	v_mul_f16_sdwa v61, v23, v29 dst_sel:DWORD dst_unused:UNUSED_PAD src0_sel:DWORD src1_sel:WORD_1
	s_waitcnt vmcnt(2)
	v_mul_f16_sdwa v62, v53, v43 dst_sel:DWORD dst_unused:UNUSED_PAD src0_sel:DWORD src1_sel:WORD_1
	v_mul_f16_sdwa v63, v24, v43 dst_sel:DWORD dst_unused:UNUSED_PAD src0_sel:DWORD src1_sel:WORD_1
	;; [unrolled: 3-line block ×4, first 2 shown]
	v_fma_f16 v20, v21, v26, -v20
	v_fma_f16 v21, v49, v26, v48
	v_fma_f16 v26, v46, v27, -v56
	v_fma_f16 v27, v50, v27, v57
	;; [unrolled: 2-line block ×7, first 2 shown]
	v_pack_b32_f16 v20, v20, v21
	v_pack_b32_f16 v21, v26, v27
	;; [unrolled: 1-line block ×7, first 2 shown]
	ds_write2_b32 v33, v14, v20 offset1:9
	ds_write_b32 v1, v21 offset:72
	ds_write2_b32 v33, v22, v23 offset0:27 offset1:36
	ds_write2_b32 v33, v24, v25 offset0:45 offset1:54
	ds_write_b32 v33, v26 offset:252
	s_waitcnt lgkmcnt(0)
	; wave barrier
	s_waitcnt lgkmcnt(0)
	ds_read2_b32 v[20:21], v33 offset1:9
	ds_read2_b32 v[22:23], v33 offset0:27 offset1:36
	ds_read2_b32 v[24:25], v33 offset0:45 offset1:54
	ds_read_b32 v14, v1 offset:72
	ds_read_b32 v26, v33 offset:252
	s_waitcnt lgkmcnt(0)
	v_pk_add_f16 v23, v20, v23 neg_lo:[0,1] neg_hi:[0,1]
	v_pk_add_f16 v24, v21, v24 neg_lo:[0,1] neg_hi:[0,1]
	;; [unrolled: 1-line block ×4, first 2 shown]
	v_pk_fma_f16 v20, v20, 2.0, v23 op_sel_hi:[1,0,1] neg_lo:[0,0,1] neg_hi:[0,0,1]
	v_pk_fma_f16 v14, v14, 2.0, v25 op_sel_hi:[1,0,1] neg_lo:[0,0,1] neg_hi:[0,0,1]
	v_pk_fma_f16 v21, v21, 2.0, v24 op_sel_hi:[1,0,1] neg_lo:[0,0,1] neg_hi:[0,0,1]
	v_pk_fma_f16 v22, v22, 2.0, v26 op_sel_hi:[1,0,1] neg_lo:[0,0,1] neg_hi:[0,0,1]
	v_lshrrev_b32_e32 v27, 16, v23
	v_pk_add_f16 v14, v20, v14 neg_lo:[0,1] neg_hi:[0,1]
	v_pk_add_f16 v28, v21, v22 neg_lo:[0,1] neg_hi:[0,1]
	v_lshrrev_b32_e32 v43, 16, v24
	v_add_f16_sdwa v29, v23, v25 dst_sel:DWORD dst_unused:UNUSED_PAD src0_sel:DWORD src1_sel:WORD_1
	v_sub_f16_e32 v25, v27, v25
	v_pk_fma_f16 v22, v20, 2.0, v14 op_sel_hi:[1,0,1] neg_lo:[0,0,1] neg_hi:[0,0,1]
	v_pk_fma_f16 v20, v21, 2.0, v28 op_sel_hi:[1,0,1] neg_lo:[0,0,1] neg_hi:[0,0,1]
	v_add_f16_sdwa v21, v24, v26 dst_sel:DWORD dst_unused:UNUSED_PAD src0_sel:DWORD src1_sel:WORD_1
	v_sub_f16_e32 v44, v43, v26
	v_fma_f16 v23, v23, 2.0, -v29
	v_fma_f16 v27, v27, 2.0, -v25
	;; [unrolled: 1-line block ×4, first 2 shown]
	v_fma_f16 v43, v24, s2, v23
	v_fma_f16 v45, v26, s2, v27
	v_fma_f16 v43, v26, s3, v43
	v_fma_f16 v45, v24, s2, v45
	v_add_f16_sdwa v26, v14, v28 dst_sel:DWORD dst_unused:UNUSED_PAD src0_sel:DWORD src1_sel:WORD_1
	v_lshrrev_b32_e32 v24, 16, v14
	v_fma_f16 v46, v27, 2.0, -v45
	v_sub_f16_e32 v27, v24, v28
	v_fma_f16 v47, v14, 2.0, -v26
	v_fma_f16 v14, v21, s3, v29
	v_fma_f16 v28, v44, s3, v25
	;; [unrolled: 1-line block ×4, first 2 shown]
	v_pk_add_f16 v20, v22, v20 neg_lo:[0,1] neg_hi:[0,1]
	v_fma_f16 v23, v23, 2.0, -v43
	v_fma_f16 v24, v24, 2.0, -v27
	;; [unrolled: 1-line block ×4, first 2 shown]
	v_pk_fma_f16 v22, v22, 2.0, v20 op_sel_hi:[1,0,1] neg_lo:[0,0,1] neg_hi:[0,0,1]
	v_pack_b32_f16 v24, v47, v24
	v_pack_b32_f16 v25, v21, v25
	;; [unrolled: 1-line block ×3, first 2 shown]
	; wave barrier
	ds_write_b128 v39, v[22:25]
	v_pack_b32_f16 v23, v14, v28
	v_pack_b32_f16 v22, v26, v27
	;; [unrolled: 1-line block ×3, first 2 shown]
	ds_write_b128 v39, v[20:23] offset:16
	s_waitcnt lgkmcnt(0)
	; wave barrier
	s_waitcnt lgkmcnt(0)
	ds_read2_b32 v[20:21], v33 offset1:9
	ds_read2_b32 v[24:25], v33 offset0:24 offset1:33
	ds_read2_b32 v[22:23], v33 offset0:48 offset1:57
	s_and_saveexec_b64 s[2:3], vcc
	s_cbranch_execz .LBB0_11
; %bb.10:
	ds_read_b32 v26, v1 offset:72
	ds_read2_b32 v[14:15], v33 offset0:42 offset1:66
	s_waitcnt lgkmcnt(1)
	v_lshrrev_b32_e32 v27, 16, v26
	s_waitcnt lgkmcnt(0)
	v_lshrrev_b32_e32 v28, 16, v14
	v_lshrrev_b32_e32 v5, 16, v15
.LBB0_11:
	s_or_b64 exec, exec, s[2:3]
	s_waitcnt lgkmcnt(1)
	v_lshrrev_b32_e32 v39, 16, v24
	v_mul_f16_sdwa v47, v6, v39 dst_sel:DWORD dst_unused:UNUSED_PAD src0_sel:WORD_1 src1_sel:DWORD
	s_waitcnt lgkmcnt(0)
	v_lshrrev_b32_e32 v43, 16, v22
	v_fma_f16 v47, v6, v24, v47
	v_mul_f16_sdwa v24, v6, v24 dst_sel:DWORD dst_unused:UNUSED_PAD src0_sel:WORD_1 src1_sel:DWORD
	v_fma_f16 v6, v6, v39, -v24
	v_mul_f16_sdwa v24, v7, v43 dst_sel:DWORD dst_unused:UNUSED_PAD src0_sel:WORD_1 src1_sel:DWORD
	v_lshrrev_b32_e32 v45, 16, v25
	v_fma_f16 v24, v7, v22, v24
	v_mul_f16_sdwa v22, v7, v22 dst_sel:DWORD dst_unused:UNUSED_PAD src0_sel:WORD_1 src1_sel:DWORD
	v_fma_f16 v7, v7, v43, -v22
	v_mul_f16_sdwa v22, v8, v45 dst_sel:DWORD dst_unused:UNUSED_PAD src0_sel:WORD_1 src1_sel:DWORD
	;; [unrolled: 5-line block ×3, first 2 shown]
	v_fma_f16 v25, v9, v23, v25
	v_mul_f16_sdwa v23, v9, v23 dst_sel:DWORD dst_unused:UNUSED_PAD src0_sel:WORD_1 src1_sel:DWORD
	v_fma_f16 v9, v9, v46, -v23
	v_mul_f16_sdwa v23, v10, v28 dst_sel:DWORD dst_unused:UNUSED_PAD src0_sel:WORD_1 src1_sel:DWORD
	v_fma_f16 v23, v10, v14, v23
	v_mul_f16_sdwa v14, v10, v14 dst_sel:DWORD dst_unused:UNUSED_PAD src0_sel:WORD_1 src1_sel:DWORD
	v_fma_f16 v10, v10, v28, -v14
	v_mul_f16_sdwa v14, v11, v5 dst_sel:DWORD dst_unused:UNUSED_PAD src0_sel:WORD_1 src1_sel:DWORD
	v_fma_f16 v28, v11, v15, v14
	v_mul_f16_sdwa v14, v11, v15 dst_sel:DWORD dst_unused:UNUSED_PAD src0_sel:WORD_1 src1_sel:DWORD
	v_fma_f16 v5, v11, v5, -v14
	v_add_f16_e32 v14, v47, v24
	v_lshrrev_b32_e32 v29, 16, v20
	v_fma_f16 v14, v14, -0.5, v20
	v_sub_f16_e32 v15, v6, v7
	s_mov_b32 s2, 0xbaee
	s_movk_i32 s3, 0x3aee
	v_fma_f16 v39, v15, s2, v14
	v_fma_f16 v43, v15, s3, v14
	v_add_f16_e32 v14, v29, v6
	v_add_f16_e32 v6, v6, v7
	;; [unrolled: 1-line block ×4, first 2 shown]
	v_fma_f16 v6, v6, -0.5, v29
	v_sub_f16_e32 v7, v47, v24
	v_add_f16_e32 v11, v11, v24
	v_fma_f16 v24, v7, s3, v6
	v_fma_f16 v29, v7, s2, v6
	v_add_f16_e32 v6, v21, v22
	v_add_f16_e32 v46, v6, v25
	;; [unrolled: 1-line block ×3, first 2 shown]
	v_lshrrev_b32_e32 v44, 16, v21
	v_fma_f16 v6, v6, -0.5, v21
	v_sub_f16_e32 v7, v8, v9
	v_fma_f16 v47, v7, s2, v6
	v_fma_f16 v48, v7, s3, v6
	v_add_f16_e32 v6, v44, v8
	v_add_f16_e32 v49, v6, v9
	v_add_f16_e32 v6, v8, v9
	v_fma_f16 v6, v6, -0.5, v44
	v_sub_f16_e32 v7, v22, v25
	v_fma_f16 v8, v7, s3, v6
	v_fma_f16 v9, v7, s2, v6
	v_add_f16_e32 v6, v26, v23
	v_add_f16_e32 v14, v28, v6
	v_add_f16_e32 v6, v28, v23
	;; [unrolled: 7-line block ×3, first 2 shown]
	v_fma_f16 v5, v5, -0.5, v27
	v_sub_f16_e32 v10, v23, v28
	v_fma_f16 v20, v10, s3, v5
	v_fma_f16 v21, v10, s2, v5
	v_pack_b32_f16 v5, v11, v45
	v_pack_b32_f16 v10, v39, v24
	s_waitcnt lgkmcnt(0)
	; wave barrier
	ds_write2_b32 v41, v5, v10 offset1:8
	v_pack_b32_f16 v5, v43, v29
	ds_write_b32 v41, v5 offset:64
	v_pack_b32_f16 v5, v46, v49
	v_pack_b32_f16 v8, v47, v8
	ds_write2_b32 v42, v5, v8 offset1:8
	v_pack_b32_f16 v5, v48, v9
	ds_write_b32 v42, v5 offset:64
	s_and_saveexec_b64 s[2:3], vcc
	s_cbranch_execz .LBB0_13
; %bb.12:
	v_mov_b32_e32 v8, 0xe0
	s_mov_b32 s8, 0x5040100
	v_lshl_or_b32 v4, v4, 2, v8
	v_add_u32_e32 v4, v38, v4
	v_perm_b32 v8, v20, v6, s8
	v_perm_b32 v5, v15, v14, s8
	ds_write_b32 v4, v8
	v_perm_b32 v4, v21, v7, s8
	ds_write2_b32 v40, v5, v4 offset0:48 offset1:64
.LBB0_13:
	s_or_b64 exec, exec, s[2:3]
	s_waitcnt lgkmcnt(0)
	; wave barrier
	s_waitcnt lgkmcnt(0)
	ds_read2_b32 v[4:5], v33 offset1:9
	ds_read2_b32 v[10:11], v33 offset0:24 offset1:33
	ds_read2_b32 v[8:9], v33 offset0:48 offset1:57
	v_add_u32_e32 v22, 36, v33
	s_and_saveexec_b64 s[2:3], vcc
	s_cbranch_execz .LBB0_15
; %bb.14:
	ds_read_b32 v14, v1 offset:72
	ds_read2_b32 v[6:7], v33 offset0:42 offset1:66
	s_waitcnt lgkmcnt(1)
	v_lshrrev_b32_e32 v15, 16, v14
	s_waitcnt lgkmcnt(0)
	v_lshrrev_b32_e32 v20, 16, v6
	v_lshrrev_b32_e32 v21, 16, v7
.LBB0_15:
	s_or_b64 exec, exec, s[2:3]
	s_waitcnt lgkmcnt(1)
	v_lshrrev_b32_e32 v24, 16, v10
	v_mul_f16_sdwa v29, v16, v24 dst_sel:DWORD dst_unused:UNUSED_PAD src0_sel:WORD_1 src1_sel:DWORD
	s_waitcnt lgkmcnt(0)
	v_lshrrev_b32_e32 v25, 16, v8
	v_fma_f16 v29, v16, v10, v29
	v_mul_f16_sdwa v10, v16, v10 dst_sel:DWORD dst_unused:UNUSED_PAD src0_sel:WORD_1 src1_sel:DWORD
	v_fma_f16 v10, v16, v24, -v10
	v_mul_f16_sdwa v16, v17, v25 dst_sel:DWORD dst_unused:UNUSED_PAD src0_sel:WORD_1 src1_sel:DWORD
	v_lshrrev_b32_e32 v27, 16, v11
	v_fma_f16 v16, v17, v8, v16
	v_mul_f16_sdwa v8, v17, v8 dst_sel:DWORD dst_unused:UNUSED_PAD src0_sel:WORD_1 src1_sel:DWORD
	v_fma_f16 v8, v17, v25, -v8
	v_mul_f16_sdwa v17, v18, v27 dst_sel:DWORD dst_unused:UNUSED_PAD src0_sel:WORD_1 src1_sel:DWORD
	v_lshrrev_b32_e32 v28, 16, v9
	v_fma_f16 v17, v18, v11, v17
	v_mul_f16_sdwa v11, v18, v11 dst_sel:DWORD dst_unused:UNUSED_PAD src0_sel:WORD_1 src1_sel:DWORD
	v_fma_f16 v11, v18, v27, -v11
	v_mul_f16_sdwa v18, v19, v28 dst_sel:DWORD dst_unused:UNUSED_PAD src0_sel:WORD_1 src1_sel:DWORD
	v_fma_f16 v18, v19, v9, v18
	v_mul_f16_sdwa v9, v19, v9 dst_sel:DWORD dst_unused:UNUSED_PAD src0_sel:WORD_1 src1_sel:DWORD
	v_add_f16_e32 v24, v29, v16
	v_lshrrev_b32_e32 v23, 16, v4
	v_fma_f16 v9, v19, v28, -v9
	v_add_f16_e32 v19, v4, v29
	v_fma_f16 v4, v24, -0.5, v4
	v_sub_f16_e32 v24, v10, v8
	s_mov_b32 s8, 0xbaee
	s_movk_i32 s9, 0x3aee
	v_fma_f16 v25, v24, s8, v4
	v_fma_f16 v4, v24, s9, v4
	v_add_f16_e32 v24, v23, v10
	v_add_f16_e32 v24, v24, v8
	;; [unrolled: 1-line block ×3, first 2 shown]
	v_fma_f16 v8, v8, -0.5, v23
	v_sub_f16_e32 v10, v29, v16
	v_add_f16_e32 v23, v17, v18
	v_lshrrev_b32_e32 v26, 16, v5
	v_add_f16_e32 v19, v19, v16
	v_fma_f16 v16, v10, s9, v8
	v_fma_f16 v8, v10, s8, v8
	v_add_f16_e32 v10, v5, v17
	v_fma_f16 v5, v23, -0.5, v5
	v_sub_f16_e32 v23, v11, v9
	v_fma_f16 v27, v23, s8, v5
	v_fma_f16 v5, v23, s9, v5
	v_add_f16_e32 v23, v26, v11
	v_add_f16_e32 v23, v23, v9
	;; [unrolled: 1-line block ×3, first 2 shown]
	v_fma_f16 v9, v9, -0.5, v26
	v_sub_f16_e32 v11, v17, v18
	v_fma_f16 v17, v11, s9, v9
	v_fma_f16 v9, v11, s8, v9
	v_pack_b32_f16 v11, v19, v24
	v_add_f16_e32 v10, v10, v18
	ds_write_b32 v33, v11
	v_pack_b32_f16 v11, v25, v16
	v_pack_b32_f16 v4, v4, v8
	ds_write2_b32 v1, v11, v4 offset0:24 offset1:48
	v_pack_b32_f16 v4, v10, v23
	ds_write_b32 v33, v4 offset:36
	v_pack_b32_f16 v4, v27, v17
	v_pack_b32_f16 v5, v5, v9
	ds_write2_b32 v22, v4, v5 offset0:24 offset1:48
	s_and_saveexec_b64 s[2:3], vcc
	s_cbranch_execz .LBB0_17
; %bb.16:
	v_mul_f16_sdwa v4, v12, v20 dst_sel:DWORD dst_unused:UNUSED_PAD src0_sel:WORD_1 src1_sel:DWORD
	v_mul_f16_sdwa v5, v13, v21 dst_sel:DWORD dst_unused:UNUSED_PAD src0_sel:WORD_1 src1_sel:DWORD
	v_fma_f16 v4, v12, v6, v4
	v_fma_f16 v5, v13, v7, v5
	v_mul_f16_sdwa v6, v12, v6 dst_sel:DWORD dst_unused:UNUSED_PAD src0_sel:WORD_1 src1_sel:DWORD
	v_mul_f16_sdwa v7, v13, v7 dst_sel:DWORD dst_unused:UNUSED_PAD src0_sel:WORD_1 src1_sel:DWORD
	v_fma_f16 v6, v12, v20, -v6
	v_fma_f16 v7, v13, v21, -v7
	v_sub_f16_e32 v8, v4, v5
	v_add_f16_e32 v9, v7, v6
	v_add_f16_e32 v11, v5, v4
	v_sub_f16_e32 v12, v6, v7
	v_add_f16_e32 v6, v6, v15
	v_add_f16_e32 v4, v14, v4
	v_fma_f16 v9, v9, -0.5, v15
	v_fma_f16 v11, v11, -0.5, v14
	v_add_f16_e32 v6, v7, v6
	v_add_f16_e32 v4, v5, v4
	v_fma_f16 v10, v8, s9, v9
	v_fma_f16 v13, v12, s8, v11
	;; [unrolled: 1-line block ×4, first 2 shown]
	v_pack_b32_f16 v4, v4, v6
	ds_write_b32 v1, v4 offset:72
	v_pack_b32_f16 v4, v13, v10
	v_pack_b32_f16 v5, v7, v5
	ds_write2_b32 v1, v4, v5 offset0:42 offset1:66
.LBB0_17:
	s_or_b64 exec, exec, s[2:3]
	s_waitcnt lgkmcnt(0)
	; wave barrier
	s_waitcnt lgkmcnt(0)
	ds_read2_b32 v[6:7], v33 offset1:9
	v_mov_b32_e32 v4, s0
	v_mov_b32_e32 v5, s1
	v_mad_u64_u32 v[8:9], s[0:1], s6, v2, 0
	s_waitcnt lgkmcnt(0)
	v_lshrrev_b32_e32 v12, 16, v6
	v_mov_b32_e32 v10, v9
	v_mul_f16_sdwa v9, v37, v12 dst_sel:DWORD dst_unused:UNUSED_PAD src0_sel:WORD_1 src1_sel:DWORD
	v_fma_f16 v9, v37, v6, v9
	v_cvt_f32_f16_e32 v13, v9
	v_mad_u64_u32 v[10:11], s[0:1], s7, v2, v[10:11]
	s_mov_b32 s2, 0x1c71c71c
	v_mov_b32_e32 v9, v10
	v_cvt_f64_f32_e32 v[10:11], v13
	s_mov_b32 s3, 0x3f8c71c7
	v_mul_f64 v[10:11], v[10:11], s[2:3]
	s_movk_i32 s6, 0x1ff
	v_and_or_b32 v2, v11, s6, v10
	v_cmp_ne_u32_e32 vcc, 0, v2
	v_lshrrev_b32_e32 v10, 8, v11
	s_movk_i32 s7, 0xffe
	v_cndmask_b32_e64 v2, 0, 1, vcc
	v_bfe_u32 v13, v11, 20, 11
	v_and_or_b32 v10, v10, s7, v2
	v_sub_u32_e32 v14, 0x3f1, v13
	v_or_b32_e32 v2, 0x1000, v10
	v_med3_i32 v14, v14, 0, 13
	v_lshrrev_b32_e32 v15, v14, v2
	v_lshlrev_b32_e32 v14, v14, v15
	v_cmp_ne_u32_e32 vcc, v14, v2
	v_add_u32_e32 v13, 0xfffffc10, v13
	v_lshl_or_b32 v14, v13, 12, v10
	v_cndmask_b32_e64 v2, 0, 1, vcc
	v_or_b32_e32 v2, v15, v2
	v_cmp_gt_i32_e32 vcc, 1, v13
	v_mul_f16_sdwa v6, v37, v6 dst_sel:DWORD dst_unused:UNUSED_PAD src0_sel:WORD_1 src1_sel:DWORD
	v_fma_f16 v6, v37, v12, -v6
	v_cndmask_b32_e32 v2, v14, v2, vcc
	v_and_b32_e32 v14, 7, v2
	v_cmp_lt_i32_e32 vcc, 5, v14
	v_cmp_eq_u32_e64 s[0:1], 3, v14
	v_lshrrev_b32_e32 v2, 2, v2
	s_or_b64 vcc, s[0:1], vcc
	v_addc_co_u32_e32 v14, vcc, 0, v2, vcc
	v_mov_b32_e32 v2, 0x7c00
	v_cmp_gt_i32_e32 vcc, 31, v13
	v_cvt_f32_f16_e32 v6, v6
	s_movk_i32 s8, 0x40f
	v_cndmask_b32_e32 v14, v2, v14, vcc
	v_cmp_ne_u32_e32 vcc, 0, v10
	s_mov_b32 s9, 0x8000
	v_and_b32_sdwa v15, v11, s9 dst_sel:DWORD dst_unused:UNUSED_PAD src0_sel:WORD_1 src1_sel:DWORD
	v_cndmask_b32_e64 v10, 0, 1, vcc
	v_lshl_or_b32 v10, v10, 9, v2
	v_cmp_eq_u32_e32 vcc, s8, v13
	s_mov_b32 s10, 0xffff
	v_lshl_add_u64 v[4:5], v[8:9], 2, v[4:5]
	v_cndmask_b32_e32 v14, v14, v10, vcc
	v_cvt_f64_f32_e32 v[10:11], v6
	v_mul_f64 v[10:11], v[10:11], s[2:3]
	v_and_or_b32 v6, v11, s6, v10
	v_cmp_ne_u32_e32 vcc, 0, v6
	v_lshrrev_b32_e32 v10, 8, v11
	v_bfe_u32 v12, v11, 20, 11
	v_cndmask_b32_e64 v6, 0, 1, vcc
	v_and_or_b32 v6, v10, s7, v6
	v_sub_u32_e32 v13, 0x3f1, v12
	v_or_b32_e32 v10, 0x1000, v6
	v_med3_i32 v13, v13, 0, 13
	v_lshrrev_b32_e32 v16, v13, v10
	v_lshlrev_b32_e32 v13, v13, v16
	v_cmp_ne_u32_e32 vcc, v13, v10
	v_add_u32_e32 v12, 0xfffffc10, v12
	v_lshl_or_b32 v13, v12, 12, v6
	v_cndmask_b32_e64 v10, 0, 1, vcc
	v_or_b32_e32 v10, v16, v10
	v_cmp_gt_i32_e32 vcc, 1, v12
	s_nop 1
	v_cndmask_b32_e32 v10, v13, v10, vcc
	v_and_b32_e32 v13, 7, v10
	v_cmp_lt_i32_e32 vcc, 5, v13
	v_cmp_eq_u32_e64 s[0:1], 3, v13
	v_lshrrev_b32_e32 v10, 2, v10
	s_or_b64 vcc, s[0:1], vcc
	v_addc_co_u32_e32 v10, vcc, 0, v10, vcc
	v_cmp_gt_i32_e32 vcc, 31, v12
	s_nop 1
	v_cndmask_b32_e32 v10, v2, v10, vcc
	v_cmp_ne_u32_e32 vcc, 0, v6
	s_nop 1
	v_cndmask_b32_e64 v6, 0, 1, vcc
	v_lshl_or_b32 v6, v6, 9, v2
	v_cmp_eq_u32_e32 vcc, s8, v12
	s_nop 1
	v_cndmask_b32_e32 v6, v10, v6, vcc
	v_lshrrev_b32_e32 v10, 16, v11
	v_and_or_b32 v16, v10, s9, v6
	v_mad_u64_u32 v[10:11], s[0:1], s4, v0, 0
	v_mov_b32_e32 v6, v11
	v_mad_u64_u32 v[12:13], s[0:1], s5, v0, v[6:7]
	v_lshrrev_b32_e32 v6, 16, v7
	v_mov_b32_e32 v11, v12
	v_mul_f16_sdwa v12, v36, v6 dst_sel:DWORD dst_unused:UNUSED_PAD src0_sel:WORD_1 src1_sel:DWORD
	v_fma_f16 v12, v36, v7, v12
	v_cvt_f32_f16_e32 v12, v12
	v_bitop3_b32 v0, v15, s10, v14 bitop3:0xc8
	v_lshl_or_b32 v0, v16, 16, v0
	v_lshl_add_u64 v[4:5], v[10:11], 2, v[4:5]
	v_cvt_f64_f32_e32 v[8:9], v12
	v_mul_f64 v[8:9], v[8:9], s[2:3]
	global_store_dword v[4:5], v0, off
	v_and_or_b32 v0, v9, s6, v8
	v_cmp_ne_u32_e32 vcc, 0, v0
	v_lshrrev_b32_e32 v8, 8, v9
	v_bfe_u32 v10, v9, 20, 11
	v_cndmask_b32_e64 v0, 0, 1, vcc
	v_and_or_b32 v0, v8, s7, v0
	v_sub_u32_e32 v11, 0x3f1, v10
	v_or_b32_e32 v8, 0x1000, v0
	v_med3_i32 v11, v11, 0, 13
	v_lshrrev_b32_e32 v12, v11, v8
	v_lshlrev_b32_e32 v11, v11, v12
	v_cmp_ne_u32_e32 vcc, v11, v8
	v_add_u32_e32 v10, 0xfffffc10, v10
	v_lshl_or_b32 v11, v10, 12, v0
	v_cndmask_b32_e64 v8, 0, 1, vcc
	v_or_b32_e32 v8, v12, v8
	v_cmp_gt_i32_e32 vcc, 1, v10
	v_mul_f16_sdwa v7, v36, v7 dst_sel:DWORD dst_unused:UNUSED_PAD src0_sel:WORD_1 src1_sel:DWORD
	v_fma_f16 v6, v36, v6, -v7
	v_cndmask_b32_e32 v8, v11, v8, vcc
	v_and_b32_e32 v11, 7, v8
	v_cmp_lt_i32_e32 vcc, 5, v11
	v_cmp_eq_u32_e64 s[0:1], 3, v11
	v_cvt_f32_f16_e32 v6, v6
	v_lshrrev_b32_e32 v8, 2, v8
	s_or_b64 vcc, s[0:1], vcc
	v_addc_co_u32_e32 v8, vcc, 0, v8, vcc
	v_cmp_gt_i32_e32 vcc, 31, v10
	v_cvt_f64_f32_e32 v[6:7], v6
	v_mul_f64 v[6:7], v[6:7], s[2:3]
	v_cndmask_b32_e32 v8, v2, v8, vcc
	v_cmp_ne_u32_e32 vcc, 0, v0
	v_and_or_b32 v6, v7, s6, v6
	s_mul_i32 s5, s5, 36
	v_cndmask_b32_e64 v0, 0, 1, vcc
	v_lshl_or_b32 v0, v0, 9, v2
	v_cmp_eq_u32_e32 vcc, s8, v10
	v_bfe_u32 v10, v7, 20, 11
	v_sub_u32_e32 v11, 0x3f1, v10
	v_cndmask_b32_e32 v0, v8, v0, vcc
	v_cmp_ne_u32_e32 vcc, 0, v6
	v_and_b32_sdwa v8, v9, s9 dst_sel:DWORD dst_unused:UNUSED_PAD src0_sel:WORD_1 src1_sel:DWORD
	v_lshrrev_b32_e32 v9, 8, v7
	v_cndmask_b32_e64 v6, 0, 1, vcc
	v_and_or_b32 v6, v9, s7, v6
	v_or_b32_e32 v9, 0x1000, v6
	v_med3_i32 v11, v11, 0, 13
	v_lshrrev_b32_e32 v12, v11, v9
	v_lshlrev_b32_e32 v11, v11, v12
	v_cmp_ne_u32_e32 vcc, v11, v9
	v_add_u32_e32 v10, 0xfffffc10, v10
	v_lshl_or_b32 v11, v10, 12, v6
	v_cndmask_b32_e64 v9, 0, 1, vcc
	v_or_b32_e32 v9, v12, v9
	v_cmp_gt_i32_e32 vcc, 1, v10
	v_lshrrev_b32_e32 v7, 16, v7
	v_bitop3_b32 v0, v8, s10, v0 bitop3:0xc8
	v_cndmask_b32_e32 v9, v11, v9, vcc
	v_and_b32_e32 v11, 7, v9
	v_cmp_lt_i32_e32 vcc, 5, v11
	v_cmp_eq_u32_e64 s[0:1], 3, v11
	v_lshrrev_b32_e32 v9, 2, v9
	s_or_b64 vcc, s[0:1], vcc
	v_addc_co_u32_e32 v9, vcc, 0, v9, vcc
	v_cmp_gt_i32_e32 vcc, 31, v10
	ds_read_b32 v8, v33 offset:252
	s_nop 0
	v_cndmask_b32_e32 v9, v2, v9, vcc
	v_cmp_ne_u32_e32 vcc, 0, v6
	s_nop 1
	v_cndmask_b32_e64 v6, 0, 1, vcc
	v_lshl_or_b32 v6, v6, 9, v2
	v_cmp_eq_u32_e32 vcc, s8, v10
	s_nop 1
	v_cndmask_b32_e32 v6, v9, v6, vcc
	v_and_or_b32 v6, v7, s9, v6
	ds_read_b32 v7, v1 offset:72
	v_lshl_or_b32 v6, v6, 16, v0
	v_mad_u64_u32 v[0:1], s[0:1], s4, 36, v[4:5]
	v_add_u32_e32 v1, s5, v1
	s_waitcnt lgkmcnt(0)
	v_lshrrev_b32_e32 v9, 16, v7
	v_mul_f16_sdwa v4, v35, v9 dst_sel:DWORD dst_unused:UNUSED_PAD src0_sel:WORD_1 src1_sel:DWORD
	v_fma_f16 v4, v35, v7, v4
	v_cvt_f32_f16_e32 v4, v4
	global_store_dword v[0:1], v6, off
	v_mul_f16_sdwa v7, v35, v7 dst_sel:DWORD dst_unused:UNUSED_PAD src0_sel:WORD_1 src1_sel:DWORD
	v_fma_f16 v7, v35, v9, -v7
	v_cvt_f64_f32_e32 v[4:5], v4
	v_mul_f64 v[4:5], v[4:5], s[2:3]
	v_and_or_b32 v4, v5, s6, v4
	v_cmp_ne_u32_e32 vcc, 0, v4
	v_lshrrev_b32_e32 v6, 8, v5
	v_bfe_u32 v10, v5, 20, 11
	v_cndmask_b32_e64 v4, 0, 1, vcc
	v_and_or_b32 v4, v6, s7, v4
	v_sub_u32_e32 v11, 0x3f1, v10
	v_or_b32_e32 v6, 0x1000, v4
	v_med3_i32 v11, v11, 0, 13
	v_lshrrev_b32_e32 v12, v11, v6
	v_lshlrev_b32_e32 v11, v11, v12
	v_cmp_ne_u32_e32 vcc, v11, v6
	v_add_u32_e32 v10, 0xfffffc10, v10
	v_lshl_or_b32 v11, v10, 12, v4
	v_cndmask_b32_e64 v6, 0, 1, vcc
	v_or_b32_e32 v6, v12, v6
	v_cmp_gt_i32_e32 vcc, 1, v10
	v_cvt_f32_f16_e32 v7, v7
	s_nop 0
	v_cndmask_b32_e32 v6, v11, v6, vcc
	v_and_b32_e32 v11, 7, v6
	v_cmp_lt_i32_e32 vcc, 5, v11
	v_cmp_eq_u32_e64 s[0:1], 3, v11
	v_lshrrev_b32_e32 v6, 2, v6
	s_or_b64 vcc, s[0:1], vcc
	v_addc_co_u32_e32 v6, vcc, 0, v6, vcc
	v_cmp_gt_i32_e32 vcc, 31, v10
	s_nop 1
	v_cndmask_b32_e32 v6, v2, v6, vcc
	v_cmp_ne_u32_e32 vcc, 0, v4
	s_nop 1
	v_cndmask_b32_e64 v4, 0, 1, vcc
	v_lshl_or_b32 v4, v4, 9, v2
	v_cmp_eq_u32_e32 vcc, s8, v10
	v_and_b32_sdwa v10, v5, s9 dst_sel:DWORD dst_unused:UNUSED_PAD src0_sel:WORD_1 src1_sel:DWORD
	s_nop 0
	v_cndmask_b32_e32 v9, v6, v4, vcc
	v_cvt_f64_f32_e32 v[4:5], v7
	v_mul_f64 v[4:5], v[4:5], s[2:3]
	v_and_or_b32 v4, v5, s6, v4
	v_cmp_ne_u32_e32 vcc, 0, v4
	v_lshrrev_b32_e32 v6, 8, v5
	v_bfe_u32 v7, v5, 20, 11
	v_cndmask_b32_e64 v4, 0, 1, vcc
	v_and_or_b32 v4, v6, s7, v4
	v_sub_u32_e32 v11, 0x3f1, v7
	v_or_b32_e32 v6, 0x1000, v4
	v_med3_i32 v11, v11, 0, 13
	v_lshrrev_b32_e32 v12, v11, v6
	v_lshlrev_b32_e32 v11, v11, v12
	v_cmp_ne_u32_e32 vcc, v11, v6
	v_add_u32_e32 v7, 0xfffffc10, v7
	v_lshl_or_b32 v11, v7, 12, v4
	v_cndmask_b32_e64 v6, 0, 1, vcc
	v_or_b32_e32 v6, v12, v6
	v_cmp_gt_i32_e32 vcc, 1, v7
	v_lshrrev_b32_e32 v5, 16, v5
	s_nop 0
	v_cndmask_b32_e32 v6, v11, v6, vcc
	v_and_b32_e32 v11, 7, v6
	v_cmp_lt_i32_e32 vcc, 5, v11
	v_cmp_eq_u32_e64 s[0:1], 3, v11
	v_lshrrev_b32_e32 v6, 2, v6
	s_or_b64 vcc, s[0:1], vcc
	v_addc_co_u32_e32 v6, vcc, 0, v6, vcc
	v_cmp_gt_i32_e32 vcc, 31, v7
	v_mad_u64_u32 v[0:1], s[0:1], s4, 36, v[0:1]
	s_nop 0
	v_cndmask_b32_e32 v6, v2, v6, vcc
	v_cmp_ne_u32_e32 vcc, 0, v4
	v_add_u32_e32 v1, s5, v1
	s_nop 0
	v_cndmask_b32_e64 v4, 0, 1, vcc
	v_lshl_or_b32 v4, v4, 9, v2
	v_cmp_eq_u32_e32 vcc, s8, v7
	s_nop 1
	v_cndmask_b32_e32 v4, v6, v4, vcc
	ds_read2_b32 v[6:7], v33 offset0:27 offset1:36
	v_and_or_b32 v4, v5, s9, v4
	v_bitop3_b32 v5, v10, s10, v9 bitop3:0xc8
	v_lshl_or_b32 v4, v4, 16, v5
	global_store_dword v[0:1], v4, off
	s_waitcnt lgkmcnt(0)
	v_lshrrev_b32_e32 v9, 16, v6
	v_mul_f16_sdwa v5, v34, v9 dst_sel:DWORD dst_unused:UNUSED_PAD src0_sel:WORD_1 src1_sel:DWORD
	v_fma_f16 v5, v34, v6, v5
	v_cvt_f32_f16_e32 v5, v5
	v_mul_f16_sdwa v6, v34, v6 dst_sel:DWORD dst_unused:UNUSED_PAD src0_sel:WORD_1 src1_sel:DWORD
	v_fma_f16 v6, v34, v9, -v6
	v_cvt_f32_f16_e32 v6, v6
	v_cvt_f64_f32_e32 v[4:5], v5
	v_mul_f64 v[4:5], v[4:5], s[2:3]
	v_and_or_b32 v4, v5, s6, v4
	v_cmp_ne_u32_e32 vcc, 0, v4
	v_lshrrev_b32_e32 v10, 8, v5
	v_bfe_u32 v11, v5, 20, 11
	v_cndmask_b32_e64 v4, 0, 1, vcc
	v_and_or_b32 v4, v10, s7, v4
	v_sub_u32_e32 v12, 0x3f1, v11
	v_or_b32_e32 v10, 0x1000, v4
	v_med3_i32 v12, v12, 0, 13
	v_lshrrev_b32_e32 v13, v12, v10
	v_lshlrev_b32_e32 v12, v12, v13
	v_cmp_ne_u32_e32 vcc, v12, v10
	v_add_u32_e32 v11, 0xfffffc10, v11
	v_lshl_or_b32 v12, v11, 12, v4
	v_cndmask_b32_e64 v10, 0, 1, vcc
	v_or_b32_e32 v10, v13, v10
	v_cmp_gt_i32_e32 vcc, 1, v11
	s_nop 1
	v_cndmask_b32_e32 v10, v12, v10, vcc
	v_and_b32_e32 v12, 7, v10
	v_cmp_lt_i32_e32 vcc, 5, v12
	v_cmp_eq_u32_e64 s[0:1], 3, v12
	v_lshrrev_b32_e32 v10, 2, v10
	s_or_b64 vcc, s[0:1], vcc
	v_addc_co_u32_e32 v10, vcc, 0, v10, vcc
	v_cmp_gt_i32_e32 vcc, 31, v11
	s_nop 1
	v_cndmask_b32_e32 v10, v2, v10, vcc
	v_cmp_ne_u32_e32 vcc, 0, v4
	s_nop 1
	v_cndmask_b32_e64 v4, 0, 1, vcc
	v_lshl_or_b32 v4, v4, 9, v2
	v_cmp_eq_u32_e32 vcc, s8, v11
	s_nop 1
	v_cndmask_b32_e32 v9, v10, v4, vcc
	v_and_b32_sdwa v10, v5, s9 dst_sel:DWORD dst_unused:UNUSED_PAD src0_sel:WORD_1 src1_sel:DWORD
	v_cvt_f64_f32_e32 v[4:5], v6
	v_mul_f64 v[4:5], v[4:5], s[2:3]
	v_and_or_b32 v4, v5, s6, v4
	v_cmp_ne_u32_e32 vcc, 0, v4
	v_lshrrev_b32_e32 v6, 8, v5
	v_bfe_u32 v11, v5, 20, 11
	v_cndmask_b32_e64 v4, 0, 1, vcc
	v_and_or_b32 v4, v6, s7, v4
	v_sub_u32_e32 v12, 0x3f1, v11
	v_or_b32_e32 v6, 0x1000, v4
	v_med3_i32 v12, v12, 0, 13
	v_lshrrev_b32_e32 v13, v12, v6
	v_lshlrev_b32_e32 v12, v12, v13
	v_cmp_ne_u32_e32 vcc, v12, v6
	v_add_u32_e32 v11, 0xfffffc10, v11
	v_lshl_or_b32 v12, v11, 12, v4
	v_cndmask_b32_e64 v6, 0, 1, vcc
	v_or_b32_e32 v6, v13, v6
	v_cmp_gt_i32_e32 vcc, 1, v11
	v_lshrrev_b32_e32 v5, 16, v5
	s_nop 0
	v_cndmask_b32_e32 v6, v12, v6, vcc
	v_and_b32_e32 v12, 7, v6
	v_cmp_lt_i32_e32 vcc, 5, v12
	v_cmp_eq_u32_e64 s[0:1], 3, v12
	v_lshrrev_b32_e32 v6, 2, v6
	s_or_b64 vcc, s[0:1], vcc
	v_addc_co_u32_e32 v6, vcc, 0, v6, vcc
	v_cmp_gt_i32_e32 vcc, 31, v11
	v_mad_u64_u32 v[0:1], s[0:1], s4, 36, v[0:1]
	s_nop 0
	v_cndmask_b32_e32 v6, v2, v6, vcc
	v_cmp_ne_u32_e32 vcc, 0, v4
	v_add_u32_e32 v1, s5, v1
	s_nop 0
	v_cndmask_b32_e64 v4, 0, 1, vcc
	v_lshl_or_b32 v4, v4, 9, v2
	v_cmp_eq_u32_e32 vcc, s8, v11
	s_nop 1
	v_cndmask_b32_e32 v4, v6, v4, vcc
	v_and_or_b32 v4, v5, s9, v4
	v_bitop3_b32 v5, v10, s10, v9 bitop3:0xc8
	v_lshrrev_b32_e32 v6, 16, v7
	v_lshl_or_b32 v4, v4, 16, v5
	v_mul_f16_sdwa v5, v32, v6 dst_sel:DWORD dst_unused:UNUSED_PAD src0_sel:WORD_1 src1_sel:DWORD
	v_fma_f16 v5, v32, v7, v5
	v_cvt_f32_f16_e32 v5, v5
	global_store_dword v[0:1], v4, off
	v_mul_f16_sdwa v7, v32, v7 dst_sel:DWORD dst_unused:UNUSED_PAD src0_sel:WORD_1 src1_sel:DWORD
	v_fma_f16 v6, v32, v6, -v7
	v_cvt_f64_f32_e32 v[4:5], v5
	v_mul_f64 v[4:5], v[4:5], s[2:3]
	v_and_or_b32 v4, v5, s6, v4
	v_cmp_ne_u32_e32 vcc, 0, v4
	v_lshrrev_b32_e32 v9, 8, v5
	v_bfe_u32 v10, v5, 20, 11
	v_cndmask_b32_e64 v4, 0, 1, vcc
	v_and_or_b32 v4, v9, s7, v4
	v_sub_u32_e32 v11, 0x3f1, v10
	v_or_b32_e32 v9, 0x1000, v4
	v_med3_i32 v11, v11, 0, 13
	v_lshrrev_b32_e32 v12, v11, v9
	v_lshlrev_b32_e32 v11, v11, v12
	v_cmp_ne_u32_e32 vcc, v11, v9
	v_add_u32_e32 v10, 0xfffffc10, v10
	v_lshl_or_b32 v11, v10, 12, v4
	v_cndmask_b32_e64 v9, 0, 1, vcc
	v_or_b32_e32 v9, v12, v9
	v_cmp_gt_i32_e32 vcc, 1, v10
	v_cvt_f32_f16_e32 v6, v6
	s_nop 0
	v_cndmask_b32_e32 v9, v11, v9, vcc
	v_and_b32_e32 v11, 7, v9
	v_cmp_lt_i32_e32 vcc, 5, v11
	v_cmp_eq_u32_e64 s[0:1], 3, v11
	v_lshrrev_b32_e32 v9, 2, v9
	s_or_b64 vcc, s[0:1], vcc
	v_addc_co_u32_e32 v9, vcc, 0, v9, vcc
	v_cmp_gt_i32_e32 vcc, 31, v10
	s_nop 1
	v_cndmask_b32_e32 v9, v2, v9, vcc
	v_cmp_ne_u32_e32 vcc, 0, v4
	s_nop 1
	v_cndmask_b32_e64 v4, 0, 1, vcc
	v_lshl_or_b32 v4, v4, 9, v2
	v_cmp_eq_u32_e32 vcc, s8, v10
	v_and_b32_sdwa v10, v5, s9 dst_sel:DWORD dst_unused:UNUSED_PAD src0_sel:WORD_1 src1_sel:DWORD
	s_nop 0
	v_cndmask_b32_e32 v9, v9, v4, vcc
	v_cvt_f64_f32_e32 v[4:5], v6
	v_mul_f64 v[4:5], v[4:5], s[2:3]
	v_and_or_b32 v4, v5, s6, v4
	v_cmp_ne_u32_e32 vcc, 0, v4
	v_lshrrev_b32_e32 v6, 8, v5
	v_bfe_u32 v7, v5, 20, 11
	v_cndmask_b32_e64 v4, 0, 1, vcc
	v_and_or_b32 v4, v6, s7, v4
	v_sub_u32_e32 v11, 0x3f1, v7
	v_or_b32_e32 v6, 0x1000, v4
	v_med3_i32 v11, v11, 0, 13
	v_lshrrev_b32_e32 v12, v11, v6
	v_lshlrev_b32_e32 v11, v11, v12
	v_cmp_ne_u32_e32 vcc, v11, v6
	v_add_u32_e32 v7, 0xfffffc10, v7
	v_lshl_or_b32 v11, v7, 12, v4
	v_cndmask_b32_e64 v6, 0, 1, vcc
	v_or_b32_e32 v6, v12, v6
	v_cmp_gt_i32_e32 vcc, 1, v7
	v_lshrrev_b32_e32 v5, 16, v5
	s_nop 0
	v_cndmask_b32_e32 v6, v11, v6, vcc
	v_and_b32_e32 v11, 7, v6
	v_cmp_lt_i32_e32 vcc, 5, v11
	v_cmp_eq_u32_e64 s[0:1], 3, v11
	v_lshrrev_b32_e32 v6, 2, v6
	s_or_b64 vcc, s[0:1], vcc
	v_addc_co_u32_e32 v6, vcc, 0, v6, vcc
	v_cmp_gt_i32_e32 vcc, 31, v7
	v_mad_u64_u32 v[0:1], s[0:1], s4, 36, v[0:1]
	s_nop 0
	v_cndmask_b32_e32 v6, v2, v6, vcc
	v_cmp_ne_u32_e32 vcc, 0, v4
	v_add_u32_e32 v1, s5, v1
	s_nop 0
	v_cndmask_b32_e64 v4, 0, 1, vcc
	v_lshl_or_b32 v4, v4, 9, v2
	v_cmp_eq_u32_e32 vcc, s8, v7
	s_nop 1
	v_cndmask_b32_e32 v4, v6, v4, vcc
	ds_read2_b32 v[6:7], v33 offset0:45 offset1:54
	v_and_or_b32 v4, v5, s9, v4
	v_bitop3_b32 v5, v10, s10, v9 bitop3:0xc8
	v_lshl_or_b32 v4, v4, 16, v5
	global_store_dword v[0:1], v4, off
	s_waitcnt lgkmcnt(0)
	v_lshrrev_b32_e32 v9, 16, v6
	v_mul_f16_sdwa v5, v31, v9 dst_sel:DWORD dst_unused:UNUSED_PAD src0_sel:WORD_1 src1_sel:DWORD
	v_fma_f16 v5, v31, v6, v5
	v_cvt_f32_f16_e32 v5, v5
	v_mul_f16_sdwa v6, v31, v6 dst_sel:DWORD dst_unused:UNUSED_PAD src0_sel:WORD_1 src1_sel:DWORD
	v_fma_f16 v6, v31, v9, -v6
	v_cvt_f32_f16_e32 v6, v6
	v_cvt_f64_f32_e32 v[4:5], v5
	v_mul_f64 v[4:5], v[4:5], s[2:3]
	v_and_or_b32 v4, v5, s6, v4
	v_cmp_ne_u32_e32 vcc, 0, v4
	v_lshrrev_b32_e32 v10, 8, v5
	v_bfe_u32 v11, v5, 20, 11
	v_cndmask_b32_e64 v4, 0, 1, vcc
	v_and_or_b32 v4, v10, s7, v4
	v_sub_u32_e32 v12, 0x3f1, v11
	v_or_b32_e32 v10, 0x1000, v4
	v_med3_i32 v12, v12, 0, 13
	v_lshrrev_b32_e32 v13, v12, v10
	v_lshlrev_b32_e32 v12, v12, v13
	v_cmp_ne_u32_e32 vcc, v12, v10
	v_add_u32_e32 v11, 0xfffffc10, v11
	v_lshl_or_b32 v12, v11, 12, v4
	v_cndmask_b32_e64 v10, 0, 1, vcc
	v_or_b32_e32 v10, v13, v10
	v_cmp_gt_i32_e32 vcc, 1, v11
	s_nop 1
	v_cndmask_b32_e32 v10, v12, v10, vcc
	v_and_b32_e32 v12, 7, v10
	v_cmp_lt_i32_e32 vcc, 5, v12
	v_cmp_eq_u32_e64 s[0:1], 3, v12
	v_lshrrev_b32_e32 v10, 2, v10
	s_or_b64 vcc, s[0:1], vcc
	v_addc_co_u32_e32 v10, vcc, 0, v10, vcc
	v_cmp_gt_i32_e32 vcc, 31, v11
	s_nop 1
	v_cndmask_b32_e32 v10, v2, v10, vcc
	v_cmp_ne_u32_e32 vcc, 0, v4
	s_nop 1
	v_cndmask_b32_e64 v4, 0, 1, vcc
	v_lshl_or_b32 v4, v4, 9, v2
	v_cmp_eq_u32_e32 vcc, s8, v11
	s_nop 1
	v_cndmask_b32_e32 v9, v10, v4, vcc
	v_and_b32_sdwa v10, v5, s9 dst_sel:DWORD dst_unused:UNUSED_PAD src0_sel:WORD_1 src1_sel:DWORD
	v_cvt_f64_f32_e32 v[4:5], v6
	v_mul_f64 v[4:5], v[4:5], s[2:3]
	v_and_or_b32 v4, v5, s6, v4
	v_cmp_ne_u32_e32 vcc, 0, v4
	v_lshrrev_b32_e32 v6, 8, v5
	v_bfe_u32 v11, v5, 20, 11
	v_cndmask_b32_e64 v4, 0, 1, vcc
	v_and_or_b32 v4, v6, s7, v4
	v_sub_u32_e32 v12, 0x3f1, v11
	v_or_b32_e32 v6, 0x1000, v4
	v_med3_i32 v12, v12, 0, 13
	v_lshrrev_b32_e32 v13, v12, v6
	v_lshlrev_b32_e32 v12, v12, v13
	v_cmp_ne_u32_e32 vcc, v12, v6
	v_add_u32_e32 v11, 0xfffffc10, v11
	v_lshl_or_b32 v12, v11, 12, v4
	v_cndmask_b32_e64 v6, 0, 1, vcc
	v_or_b32_e32 v6, v13, v6
	v_cmp_gt_i32_e32 vcc, 1, v11
	v_lshrrev_b32_e32 v5, 16, v5
	s_nop 0
	v_cndmask_b32_e32 v6, v12, v6, vcc
	v_and_b32_e32 v12, 7, v6
	v_cmp_lt_i32_e32 vcc, 5, v12
	v_cmp_eq_u32_e64 s[0:1], 3, v12
	v_lshrrev_b32_e32 v6, 2, v6
	s_or_b64 vcc, s[0:1], vcc
	v_addc_co_u32_e32 v6, vcc, 0, v6, vcc
	v_cmp_gt_i32_e32 vcc, 31, v11
	v_mad_u64_u32 v[0:1], s[0:1], s4, 36, v[0:1]
	s_nop 0
	v_cndmask_b32_e32 v6, v2, v6, vcc
	v_cmp_ne_u32_e32 vcc, 0, v4
	v_add_u32_e32 v1, s5, v1
	s_nop 0
	v_cndmask_b32_e64 v4, 0, 1, vcc
	v_lshl_or_b32 v4, v4, 9, v2
	v_cmp_eq_u32_e32 vcc, s8, v11
	s_nop 1
	v_cndmask_b32_e32 v4, v6, v4, vcc
	v_and_or_b32 v4, v5, s9, v4
	v_bitop3_b32 v5, v10, s10, v9 bitop3:0xc8
	v_lshrrev_b32_e32 v6, 16, v7
	v_lshl_or_b32 v4, v4, 16, v5
	v_mul_f16_sdwa v5, v30, v6 dst_sel:DWORD dst_unused:UNUSED_PAD src0_sel:WORD_1 src1_sel:DWORD
	v_fma_f16 v5, v30, v7, v5
	v_cvt_f32_f16_e32 v5, v5
	global_store_dword v[0:1], v4, off
	v_mul_f16_sdwa v7, v30, v7 dst_sel:DWORD dst_unused:UNUSED_PAD src0_sel:WORD_1 src1_sel:DWORD
	v_fma_f16 v6, v30, v6, -v7
	v_cvt_f64_f32_e32 v[4:5], v5
	v_mul_f64 v[4:5], v[4:5], s[2:3]
	v_and_or_b32 v4, v5, s6, v4
	v_cmp_ne_u32_e32 vcc, 0, v4
	v_lshrrev_b32_e32 v9, 8, v5
	v_bfe_u32 v10, v5, 20, 11
	v_cndmask_b32_e64 v4, 0, 1, vcc
	v_and_or_b32 v4, v9, s7, v4
	v_sub_u32_e32 v11, 0x3f1, v10
	v_or_b32_e32 v9, 0x1000, v4
	v_med3_i32 v11, v11, 0, 13
	v_lshrrev_b32_e32 v12, v11, v9
	v_lshlrev_b32_e32 v11, v11, v12
	v_cmp_ne_u32_e32 vcc, v11, v9
	v_add_u32_e32 v10, 0xfffffc10, v10
	v_lshl_or_b32 v11, v10, 12, v4
	v_cndmask_b32_e64 v9, 0, 1, vcc
	v_or_b32_e32 v9, v12, v9
	v_cmp_gt_i32_e32 vcc, 1, v10
	v_cvt_f32_f16_e32 v6, v6
	s_nop 0
	v_cndmask_b32_e32 v9, v11, v9, vcc
	v_and_b32_e32 v11, 7, v9
	v_cmp_lt_i32_e32 vcc, 5, v11
	v_cmp_eq_u32_e64 s[0:1], 3, v11
	v_lshrrev_b32_e32 v9, 2, v9
	s_or_b64 vcc, s[0:1], vcc
	v_addc_co_u32_e32 v9, vcc, 0, v9, vcc
	v_cmp_gt_i32_e32 vcc, 31, v10
	s_nop 1
	v_cndmask_b32_e32 v9, v2, v9, vcc
	v_cmp_ne_u32_e32 vcc, 0, v4
	s_nop 1
	v_cndmask_b32_e64 v4, 0, 1, vcc
	v_lshl_or_b32 v4, v4, 9, v2
	v_cmp_eq_u32_e32 vcc, s8, v10
	s_nop 1
	v_cndmask_b32_e32 v7, v9, v4, vcc
	v_and_b32_sdwa v9, v5, s9 dst_sel:DWORD dst_unused:UNUSED_PAD src0_sel:WORD_1 src1_sel:DWORD
	v_cvt_f64_f32_e32 v[4:5], v6
	v_mul_f64 v[4:5], v[4:5], s[2:3]
	v_and_or_b32 v4, v5, s6, v4
	v_cmp_ne_u32_e32 vcc, 0, v4
	v_lshrrev_b32_e32 v6, 8, v5
	v_bfe_u32 v10, v5, 20, 11
	v_cndmask_b32_e64 v4, 0, 1, vcc
	v_and_or_b32 v4, v6, s7, v4
	v_sub_u32_e32 v11, 0x3f1, v10
	v_or_b32_e32 v6, 0x1000, v4
	v_med3_i32 v11, v11, 0, 13
	v_lshrrev_b32_e32 v12, v11, v6
	v_lshlrev_b32_e32 v11, v11, v12
	v_cmp_ne_u32_e32 vcc, v11, v6
	v_add_u32_e32 v10, 0xfffffc10, v10
	v_lshl_or_b32 v11, v10, 12, v4
	v_cndmask_b32_e64 v6, 0, 1, vcc
	v_or_b32_e32 v6, v12, v6
	v_cmp_gt_i32_e32 vcc, 1, v10
	v_lshrrev_b32_e32 v5, 16, v5
	s_nop 0
	v_cndmask_b32_e32 v6, v11, v6, vcc
	v_and_b32_e32 v11, 7, v6
	v_cmp_lt_i32_e32 vcc, 5, v11
	v_cmp_eq_u32_e64 s[0:1], 3, v11
	v_lshrrev_b32_e32 v6, 2, v6
	s_or_b64 vcc, s[0:1], vcc
	v_addc_co_u32_e32 v6, vcc, 0, v6, vcc
	v_cmp_gt_i32_e32 vcc, 31, v10
	v_mad_u64_u32 v[0:1], s[0:1], s4, 36, v[0:1]
	s_nop 0
	v_cndmask_b32_e32 v6, v2, v6, vcc
	v_cmp_ne_u32_e32 vcc, 0, v4
	v_add_u32_e32 v1, s5, v1
	s_nop 0
	v_cndmask_b32_e64 v4, 0, 1, vcc
	v_lshl_or_b32 v4, v4, 9, v2
	v_cmp_eq_u32_e32 vcc, s8, v10
	s_nop 1
	v_cndmask_b32_e32 v4, v6, v4, vcc
	v_and_or_b32 v4, v5, s9, v4
	v_bitop3_b32 v5, v9, s10, v7 bitop3:0xc8
	v_lshrrev_b32_e32 v6, 16, v8
	v_lshl_or_b32 v4, v4, 16, v5
	v_mul_f16_sdwa v5, v3, v6 dst_sel:DWORD dst_unused:UNUSED_PAD src0_sel:WORD_1 src1_sel:DWORD
	v_fma_f16 v5, v3, v8, v5
	v_cvt_f32_f16_e32 v5, v5
	global_store_dword v[0:1], v4, off
	v_mul_f16_sdwa v8, v3, v8 dst_sel:DWORD dst_unused:UNUSED_PAD src0_sel:WORD_1 src1_sel:DWORD
	v_fma_f16 v3, v3, v6, -v8
	v_cvt_f64_f32_e32 v[4:5], v5
	v_mul_f64 v[4:5], v[4:5], s[2:3]
	v_and_or_b32 v4, v5, s6, v4
	v_cmp_ne_u32_e32 vcc, 0, v4
	v_lshrrev_b32_e32 v7, 8, v5
	v_bfe_u32 v9, v5, 20, 11
	v_cndmask_b32_e64 v4, 0, 1, vcc
	v_and_or_b32 v4, v7, s7, v4
	v_sub_u32_e32 v10, 0x3f1, v9
	v_or_b32_e32 v7, 0x1000, v4
	v_med3_i32 v10, v10, 0, 13
	v_lshrrev_b32_e32 v11, v10, v7
	v_lshlrev_b32_e32 v10, v10, v11
	v_cmp_ne_u32_e32 vcc, v10, v7
	v_add_u32_e32 v9, 0xfffffc10, v9
	v_lshl_or_b32 v10, v9, 12, v4
	v_cndmask_b32_e64 v7, 0, 1, vcc
	v_or_b32_e32 v7, v11, v7
	v_cmp_gt_i32_e32 vcc, 1, v9
	v_cvt_f32_f16_e32 v3, v3
	s_nop 0
	v_cndmask_b32_e32 v7, v10, v7, vcc
	v_and_b32_e32 v10, 7, v7
	v_cmp_lt_i32_e32 vcc, 5, v10
	v_cmp_eq_u32_e64 s[0:1], 3, v10
	v_lshrrev_b32_e32 v7, 2, v7
	s_or_b64 vcc, s[0:1], vcc
	v_addc_co_u32_e32 v7, vcc, 0, v7, vcc
	v_cmp_gt_i32_e32 vcc, 31, v9
	s_nop 1
	v_cndmask_b32_e32 v7, v2, v7, vcc
	v_cmp_ne_u32_e32 vcc, 0, v4
	s_nop 1
	v_cndmask_b32_e64 v4, 0, 1, vcc
	v_lshl_or_b32 v4, v4, 9, v2
	v_cmp_eq_u32_e32 vcc, s8, v9
	s_nop 1
	v_cndmask_b32_e32 v6, v7, v4, vcc
	v_and_b32_sdwa v7, v5, s9 dst_sel:DWORD dst_unused:UNUSED_PAD src0_sel:WORD_1 src1_sel:DWORD
	v_cvt_f64_f32_e32 v[4:5], v3
	v_mul_f64 v[4:5], v[4:5], s[2:3]
	v_and_or_b32 v3, v5, s6, v4
	v_cmp_ne_u32_e32 vcc, 0, v3
	v_lshrrev_b32_e32 v4, 8, v5
	v_bfe_u32 v8, v5, 20, 11
	v_cndmask_b32_e64 v3, 0, 1, vcc
	v_and_or_b32 v3, v4, s7, v3
	v_sub_u32_e32 v9, 0x3f1, v8
	v_or_b32_e32 v4, 0x1000, v3
	v_med3_i32 v9, v9, 0, 13
	v_lshrrev_b32_e32 v10, v9, v4
	v_lshlrev_b32_e32 v9, v9, v10
	v_cmp_ne_u32_e32 vcc, v9, v4
	v_add_u32_e32 v8, 0xfffffc10, v8
	v_lshl_or_b32 v9, v8, 12, v3
	v_cndmask_b32_e64 v4, 0, 1, vcc
	v_or_b32_e32 v4, v10, v4
	v_cmp_gt_i32_e32 vcc, 1, v8
	s_nop 1
	v_cndmask_b32_e32 v4, v9, v4, vcc
	v_and_b32_e32 v9, 7, v4
	v_cmp_lt_i32_e32 vcc, 5, v9
	v_cmp_eq_u32_e64 s[0:1], 3, v9
	v_lshrrev_b32_e32 v4, 2, v4
	s_or_b64 vcc, s[0:1], vcc
	v_addc_co_u32_e32 v4, vcc, 0, v4, vcc
	v_cmp_gt_i32_e32 vcc, 31, v8
	v_mad_u64_u32 v[0:1], s[0:1], s4, 36, v[0:1]
	s_nop 0
	v_cndmask_b32_e32 v4, v2, v4, vcc
	v_cmp_ne_u32_e32 vcc, 0, v3
	v_add_u32_e32 v1, s5, v1
	s_nop 0
	v_cndmask_b32_e64 v3, 0, 1, vcc
	v_lshl_or_b32 v2, v3, 9, v2
	v_cmp_eq_u32_e32 vcc, s8, v8
	v_lshrrev_b32_e32 v3, 16, v5
	s_nop 0
	v_cndmask_b32_e32 v2, v4, v2, vcc
	v_and_or_b32 v2, v3, s9, v2
	v_bitop3_b32 v3, v7, s10, v6 bitop3:0xc8
	v_lshl_or_b32 v2, v2, 16, v3
	global_store_dword v[0:1], v2, off
.LBB0_18:
	s_endpgm
	.section	.rodata,"a",@progbits
	.p2align	6, 0x0
	.amdhsa_kernel bluestein_single_fwd_len72_dim1_half_op_CI_CI
		.amdhsa_group_segment_fixed_size 2016
		.amdhsa_private_segment_fixed_size 0
		.amdhsa_kernarg_size 104
		.amdhsa_user_sgpr_count 2
		.amdhsa_user_sgpr_dispatch_ptr 0
		.amdhsa_user_sgpr_queue_ptr 0
		.amdhsa_user_sgpr_kernarg_segment_ptr 1
		.amdhsa_user_sgpr_dispatch_id 0
		.amdhsa_user_sgpr_kernarg_preload_length 0
		.amdhsa_user_sgpr_kernarg_preload_offset 0
		.amdhsa_user_sgpr_private_segment_size 0
		.amdhsa_uses_dynamic_stack 0
		.amdhsa_enable_private_segment 0
		.amdhsa_system_sgpr_workgroup_id_x 1
		.amdhsa_system_sgpr_workgroup_id_y 0
		.amdhsa_system_sgpr_workgroup_id_z 0
		.amdhsa_system_sgpr_workgroup_info 0
		.amdhsa_system_vgpr_workitem_id 0
		.amdhsa_next_free_vgpr 68
		.amdhsa_next_free_sgpr 20
		.amdhsa_accum_offset 68
		.amdhsa_reserve_vcc 1
		.amdhsa_float_round_mode_32 0
		.amdhsa_float_round_mode_16_64 0
		.amdhsa_float_denorm_mode_32 3
		.amdhsa_float_denorm_mode_16_64 3
		.amdhsa_dx10_clamp 1
		.amdhsa_ieee_mode 1
		.amdhsa_fp16_overflow 0
		.amdhsa_tg_split 0
		.amdhsa_exception_fp_ieee_invalid_op 0
		.amdhsa_exception_fp_denorm_src 0
		.amdhsa_exception_fp_ieee_div_zero 0
		.amdhsa_exception_fp_ieee_overflow 0
		.amdhsa_exception_fp_ieee_underflow 0
		.amdhsa_exception_fp_ieee_inexact 0
		.amdhsa_exception_int_div_zero 0
	.end_amdhsa_kernel
	.text
.Lfunc_end0:
	.size	bluestein_single_fwd_len72_dim1_half_op_CI_CI, .Lfunc_end0-bluestein_single_fwd_len72_dim1_half_op_CI_CI
                                        ; -- End function
	.section	.AMDGPU.csdata,"",@progbits
; Kernel info:
; codeLenInByte = 9596
; NumSgprs: 26
; NumVgprs: 68
; NumAgprs: 0
; TotalNumVgprs: 68
; ScratchSize: 0
; MemoryBound: 0
; FloatMode: 240
; IeeeMode: 1
; LDSByteSize: 2016 bytes/workgroup (compile time only)
; SGPRBlocks: 3
; VGPRBlocks: 8
; NumSGPRsForWavesPerEU: 26
; NumVGPRsForWavesPerEU: 68
; AccumOffset: 68
; Occupancy: 7
; WaveLimiterHint : 1
; COMPUTE_PGM_RSRC2:SCRATCH_EN: 0
; COMPUTE_PGM_RSRC2:USER_SGPR: 2
; COMPUTE_PGM_RSRC2:TRAP_HANDLER: 0
; COMPUTE_PGM_RSRC2:TGID_X_EN: 1
; COMPUTE_PGM_RSRC2:TGID_Y_EN: 0
; COMPUTE_PGM_RSRC2:TGID_Z_EN: 0
; COMPUTE_PGM_RSRC2:TIDIG_COMP_CNT: 0
; COMPUTE_PGM_RSRC3_GFX90A:ACCUM_OFFSET: 16
; COMPUTE_PGM_RSRC3_GFX90A:TG_SPLIT: 0
	.text
	.p2alignl 6, 3212836864
	.fill 256, 4, 3212836864
	.type	__hip_cuid_cc481eaff4e6c9c7,@object ; @__hip_cuid_cc481eaff4e6c9c7
	.section	.bss,"aw",@nobits
	.globl	__hip_cuid_cc481eaff4e6c9c7
__hip_cuid_cc481eaff4e6c9c7:
	.byte	0                               ; 0x0
	.size	__hip_cuid_cc481eaff4e6c9c7, 1

	.ident	"AMD clang version 19.0.0git (https://github.com/RadeonOpenCompute/llvm-project roc-6.4.0 25133 c7fe45cf4b819c5991fe208aaa96edf142730f1d)"
	.section	".note.GNU-stack","",@progbits
	.addrsig
	.addrsig_sym __hip_cuid_cc481eaff4e6c9c7
	.amdgpu_metadata
---
amdhsa.kernels:
  - .agpr_count:     0
    .args:
      - .actual_access:  read_only
        .address_space:  global
        .offset:         0
        .size:           8
        .value_kind:     global_buffer
      - .actual_access:  read_only
        .address_space:  global
        .offset:         8
        .size:           8
        .value_kind:     global_buffer
      - .actual_access:  read_only
        .address_space:  global
        .offset:         16
        .size:           8
        .value_kind:     global_buffer
      - .actual_access:  read_only
        .address_space:  global
        .offset:         24
        .size:           8
        .value_kind:     global_buffer
      - .actual_access:  read_only
        .address_space:  global
        .offset:         32
        .size:           8
        .value_kind:     global_buffer
      - .offset:         40
        .size:           8
        .value_kind:     by_value
      - .address_space:  global
        .offset:         48
        .size:           8
        .value_kind:     global_buffer
      - .address_space:  global
        .offset:         56
        .size:           8
        .value_kind:     global_buffer
      - .address_space:  global
        .offset:         64
        .size:           8
        .value_kind:     global_buffer
      - .address_space:  global
        .offset:         72
        .size:           8
        .value_kind:     global_buffer
      - .offset:         80
        .size:           4
        .value_kind:     by_value
      - .address_space:  global
        .offset:         88
        .size:           8
        .value_kind:     global_buffer
      - .address_space:  global
        .offset:         96
        .size:           8
        .value_kind:     global_buffer
    .group_segment_fixed_size: 2016
    .kernarg_segment_align: 8
    .kernarg_segment_size: 104
    .language:       OpenCL C
    .language_version:
      - 2
      - 0
    .max_flat_workgroup_size: 63
    .name:           bluestein_single_fwd_len72_dim1_half_op_CI_CI
    .private_segment_fixed_size: 0
    .sgpr_count:     26
    .sgpr_spill_count: 0
    .symbol:         bluestein_single_fwd_len72_dim1_half_op_CI_CI.kd
    .uniform_work_group_size: 1
    .uses_dynamic_stack: false
    .vgpr_count:     68
    .vgpr_spill_count: 0
    .wavefront_size: 64
amdhsa.target:   amdgcn-amd-amdhsa--gfx950
amdhsa.version:
  - 1
  - 2
...

	.end_amdgpu_metadata
